;; amdgpu-corpus repo=ROCm/hipCUB kind=compiled arch=gfx906 opt=O3
	.amdgcn_target "amdgcn-amd-amdhsa--gfx906"
	.amdhsa_code_object_version 6
	.section	.text._Z6kernelI10flag_headsiLj256ELj1ELb0ELj100EEvPKT0_PS1_,"axG",@progbits,_Z6kernelI10flag_headsiLj256ELj1ELb0ELj100EEvPKT0_PS1_,comdat
	.protected	_Z6kernelI10flag_headsiLj256ELj1ELb0ELj100EEvPKT0_PS1_ ; -- Begin function _Z6kernelI10flag_headsiLj256ELj1ELb0ELj100EEvPKT0_PS1_
	.globl	_Z6kernelI10flag_headsiLj256ELj1ELb0ELj100EEvPKT0_PS1_
	.p2align	8
	.type	_Z6kernelI10flag_headsiLj256ELj1ELb0ELj100EEvPKT0_PS1_,@function
_Z6kernelI10flag_headsiLj256ELj1ELb0ELj100EEvPKT0_PS1_: ; @_Z6kernelI10flag_headsiLj256ELj1ELb0ELj100EEvPKT0_PS1_
; %bb.0:
	s_load_dwordx4 s[0:3], s[4:5], 0x0
	s_lshl_b32 s4, s6, 8
	s_mov_b32 s5, 0
	s_lshl_b64 s[4:5], s[4:5], 2
	v_lshlrev_b32_e32 v2, 2, v0
	s_waitcnt lgkmcnt(0)
	s_add_u32 s0, s0, s4
	s_addc_u32 s1, s1, s5
	global_load_dword v1, v2, s[0:1]
	v_cmp_ne_u32_e32 vcc, 0, v0
	v_add_u32_e32 v3, -4, v2
	s_movk_i32 s8, 0x64
	s_branch .LBB0_2
.LBB0_1:                                ;   in Loop: Header=BB0_2 Depth=1
	s_or_b64 exec, exec, s[6:7]
	s_add_i32 s8, s8, -1
	v_add_u32_e32 v1, v4, v1
	s_cmp_lg_u32 s8, 0
	s_barrier
	s_cbranch_scc0 .LBB0_4
.LBB0_2:                                ; =>This Inner Loop Header: Depth=1
	v_mov_b32_e32 v4, 1
	s_waitcnt vmcnt(0)
	ds_write_b32 v2, v1
	s_waitcnt lgkmcnt(0)
	s_barrier
	s_and_saveexec_b64 s[6:7], vcc
	s_cbranch_execz .LBB0_1
; %bb.3:                                ;   in Loop: Header=BB0_2 Depth=1
	ds_read_b32 v4, v3
	s_waitcnt lgkmcnt(0)
	v_cmp_eq_u32_e64 s[0:1], v4, v1
	v_cndmask_b32_e64 v4, 0, 1, s[0:1]
	s_branch .LBB0_1
.LBB0_4:
	s_add_u32 s0, s2, s4
	s_addc_u32 s1, s3, s5
	v_lshlrev_b32_e32 v0, 2, v0
	global_store_dword v0, v1, s[0:1]
	s_endpgm
	.section	.rodata,"a",@progbits
	.p2align	6, 0x0
	.amdhsa_kernel _Z6kernelI10flag_headsiLj256ELj1ELb0ELj100EEvPKT0_PS1_
		.amdhsa_group_segment_fixed_size 2048
		.amdhsa_private_segment_fixed_size 0
		.amdhsa_kernarg_size 16
		.amdhsa_user_sgpr_count 6
		.amdhsa_user_sgpr_private_segment_buffer 1
		.amdhsa_user_sgpr_dispatch_ptr 0
		.amdhsa_user_sgpr_queue_ptr 0
		.amdhsa_user_sgpr_kernarg_segment_ptr 1
		.amdhsa_user_sgpr_dispatch_id 0
		.amdhsa_user_sgpr_flat_scratch_init 0
		.amdhsa_user_sgpr_private_segment_size 0
		.amdhsa_uses_dynamic_stack 0
		.amdhsa_system_sgpr_private_segment_wavefront_offset 0
		.amdhsa_system_sgpr_workgroup_id_x 1
		.amdhsa_system_sgpr_workgroup_id_y 0
		.amdhsa_system_sgpr_workgroup_id_z 0
		.amdhsa_system_sgpr_workgroup_info 0
		.amdhsa_system_vgpr_workitem_id 0
		.amdhsa_next_free_vgpr 5
		.amdhsa_next_free_sgpr 9
		.amdhsa_reserve_vcc 1
		.amdhsa_reserve_flat_scratch 0
		.amdhsa_float_round_mode_32 0
		.amdhsa_float_round_mode_16_64 0
		.amdhsa_float_denorm_mode_32 3
		.amdhsa_float_denorm_mode_16_64 3
		.amdhsa_dx10_clamp 1
		.amdhsa_ieee_mode 1
		.amdhsa_fp16_overflow 0
		.amdhsa_exception_fp_ieee_invalid_op 0
		.amdhsa_exception_fp_denorm_src 0
		.amdhsa_exception_fp_ieee_div_zero 0
		.amdhsa_exception_fp_ieee_overflow 0
		.amdhsa_exception_fp_ieee_underflow 0
		.amdhsa_exception_fp_ieee_inexact 0
		.amdhsa_exception_int_div_zero 0
	.end_amdhsa_kernel
	.section	.text._Z6kernelI10flag_headsiLj256ELj1ELb0ELj100EEvPKT0_PS1_,"axG",@progbits,_Z6kernelI10flag_headsiLj256ELj1ELb0ELj100EEvPKT0_PS1_,comdat
.Lfunc_end0:
	.size	_Z6kernelI10flag_headsiLj256ELj1ELb0ELj100EEvPKT0_PS1_, .Lfunc_end0-_Z6kernelI10flag_headsiLj256ELj1ELb0ELj100EEvPKT0_PS1_
                                        ; -- End function
	.set _Z6kernelI10flag_headsiLj256ELj1ELb0ELj100EEvPKT0_PS1_.num_vgpr, 5
	.set _Z6kernelI10flag_headsiLj256ELj1ELb0ELj100EEvPKT0_PS1_.num_agpr, 0
	.set _Z6kernelI10flag_headsiLj256ELj1ELb0ELj100EEvPKT0_PS1_.numbered_sgpr, 9
	.set _Z6kernelI10flag_headsiLj256ELj1ELb0ELj100EEvPKT0_PS1_.num_named_barrier, 0
	.set _Z6kernelI10flag_headsiLj256ELj1ELb0ELj100EEvPKT0_PS1_.private_seg_size, 0
	.set _Z6kernelI10flag_headsiLj256ELj1ELb0ELj100EEvPKT0_PS1_.uses_vcc, 1
	.set _Z6kernelI10flag_headsiLj256ELj1ELb0ELj100EEvPKT0_PS1_.uses_flat_scratch, 0
	.set _Z6kernelI10flag_headsiLj256ELj1ELb0ELj100EEvPKT0_PS1_.has_dyn_sized_stack, 0
	.set _Z6kernelI10flag_headsiLj256ELj1ELb0ELj100EEvPKT0_PS1_.has_recursion, 0
	.set _Z6kernelI10flag_headsiLj256ELj1ELb0ELj100EEvPKT0_PS1_.has_indirect_call, 0
	.section	.AMDGPU.csdata,"",@progbits
; Kernel info:
; codeLenInByte = 172
; TotalNumSgprs: 13
; NumVgprs: 5
; ScratchSize: 0
; MemoryBound: 0
; FloatMode: 240
; IeeeMode: 1
; LDSByteSize: 2048 bytes/workgroup (compile time only)
; SGPRBlocks: 1
; VGPRBlocks: 1
; NumSGPRsForWavesPerEU: 13
; NumVGPRsForWavesPerEU: 5
; Occupancy: 10
; WaveLimiterHint : 0
; COMPUTE_PGM_RSRC2:SCRATCH_EN: 0
; COMPUTE_PGM_RSRC2:USER_SGPR: 6
; COMPUTE_PGM_RSRC2:TRAP_HANDLER: 0
; COMPUTE_PGM_RSRC2:TGID_X_EN: 1
; COMPUTE_PGM_RSRC2:TGID_Y_EN: 0
; COMPUTE_PGM_RSRC2:TGID_Z_EN: 0
; COMPUTE_PGM_RSRC2:TIDIG_COMP_CNT: 0
	.section	.text._Z6kernelI10flag_headsiLj256ELj2ELb0ELj100EEvPKT0_PS1_,"axG",@progbits,_Z6kernelI10flag_headsiLj256ELj2ELb0ELj100EEvPKT0_PS1_,comdat
	.protected	_Z6kernelI10flag_headsiLj256ELj2ELb0ELj100EEvPKT0_PS1_ ; -- Begin function _Z6kernelI10flag_headsiLj256ELj2ELb0ELj100EEvPKT0_PS1_
	.globl	_Z6kernelI10flag_headsiLj256ELj2ELb0ELj100EEvPKT0_PS1_
	.p2align	8
	.type	_Z6kernelI10flag_headsiLj256ELj2ELb0ELj100EEvPKT0_PS1_,@function
_Z6kernelI10flag_headsiLj256ELj2ELb0ELj100EEvPKT0_PS1_: ; @_Z6kernelI10flag_headsiLj256ELj2ELb0ELj100EEvPKT0_PS1_
; %bb.0:
	s_load_dwordx4 s[8:11], s[4:5], 0x0
	s_lshl_b32 s0, s6, 9
	s_mov_b32 s1, 0
	s_lshl_b64 s[4:5], s[0:1], 2
	v_lshlrev_b32_e32 v3, 2, v0
	s_waitcnt lgkmcnt(0)
	s_add_u32 s0, s8, s4
	s_addc_u32 s1, s9, s5
	global_load_dword v1, v3, s[0:1]
	global_load_dword v2, v3, s[0:1] offset:1024
	v_cmp_ne_u32_e32 vcc, 0, v0
	v_add_u32_e32 v4, -4, v3
	s_movk_i32 s8, 0x64
	s_branch .LBB1_2
.LBB1_1:                                ;   in Loop: Header=BB1_2 Depth=1
	s_or_b64 exec, exec, s[6:7]
	v_cndmask_b32_e64 v6, 0, 1, s[0:1]
	s_add_i32 s8, s8, -1
	v_add_u32_sdwa v1, v1, v5 dst_sel:DWORD dst_unused:UNUSED_PAD src0_sel:DWORD src1_sel:BYTE_0
	v_add_u32_sdwa v2, v2, v6 dst_sel:DWORD dst_unused:UNUSED_PAD src0_sel:DWORD src1_sel:BYTE_0
	s_cmp_lg_u32 s8, 0
	s_barrier
	s_cbranch_scc0 .LBB1_4
.LBB1_2:                                ; =>This Inner Loop Header: Depth=1
	s_waitcnt vmcnt(0)
	v_cmp_eq_u32_e64 s[0:1], v1, v2
	v_mov_b32_e32 v5, 1
	ds_write_b32 v3, v2
	s_waitcnt lgkmcnt(0)
	s_barrier
	s_and_saveexec_b64 s[6:7], vcc
	s_cbranch_execz .LBB1_1
; %bb.3:                                ;   in Loop: Header=BB1_2 Depth=1
	ds_read_b32 v5, v4
	s_waitcnt lgkmcnt(0)
	v_cmp_eq_u32_e64 s[2:3], v5, v1
	v_cndmask_b32_e64 v5, 0, 1, s[2:3]
	s_branch .LBB1_1
.LBB1_4:
	s_add_u32 s0, s10, s4
	s_addc_u32 s1, s11, s5
	v_lshlrev_b32_e32 v0, 2, v0
	global_store_dword v0, v1, s[0:1]
	global_store_dword v0, v2, s[0:1] offset:1024
	s_endpgm
	.section	.rodata,"a",@progbits
	.p2align	6, 0x0
	.amdhsa_kernel _Z6kernelI10flag_headsiLj256ELj2ELb0ELj100EEvPKT0_PS1_
		.amdhsa_group_segment_fixed_size 2048
		.amdhsa_private_segment_fixed_size 0
		.amdhsa_kernarg_size 16
		.amdhsa_user_sgpr_count 6
		.amdhsa_user_sgpr_private_segment_buffer 1
		.amdhsa_user_sgpr_dispatch_ptr 0
		.amdhsa_user_sgpr_queue_ptr 0
		.amdhsa_user_sgpr_kernarg_segment_ptr 1
		.amdhsa_user_sgpr_dispatch_id 0
		.amdhsa_user_sgpr_flat_scratch_init 0
		.amdhsa_user_sgpr_private_segment_size 0
		.amdhsa_uses_dynamic_stack 0
		.amdhsa_system_sgpr_private_segment_wavefront_offset 0
		.amdhsa_system_sgpr_workgroup_id_x 1
		.amdhsa_system_sgpr_workgroup_id_y 0
		.amdhsa_system_sgpr_workgroup_id_z 0
		.amdhsa_system_sgpr_workgroup_info 0
		.amdhsa_system_vgpr_workitem_id 0
		.amdhsa_next_free_vgpr 7
		.amdhsa_next_free_sgpr 12
		.amdhsa_reserve_vcc 1
		.amdhsa_reserve_flat_scratch 0
		.amdhsa_float_round_mode_32 0
		.amdhsa_float_round_mode_16_64 0
		.amdhsa_float_denorm_mode_32 3
		.amdhsa_float_denorm_mode_16_64 3
		.amdhsa_dx10_clamp 1
		.amdhsa_ieee_mode 1
		.amdhsa_fp16_overflow 0
		.amdhsa_exception_fp_ieee_invalid_op 0
		.amdhsa_exception_fp_denorm_src 0
		.amdhsa_exception_fp_ieee_div_zero 0
		.amdhsa_exception_fp_ieee_overflow 0
		.amdhsa_exception_fp_ieee_underflow 0
		.amdhsa_exception_fp_ieee_inexact 0
		.amdhsa_exception_int_div_zero 0
	.end_amdhsa_kernel
	.section	.text._Z6kernelI10flag_headsiLj256ELj2ELb0ELj100EEvPKT0_PS1_,"axG",@progbits,_Z6kernelI10flag_headsiLj256ELj2ELb0ELj100EEvPKT0_PS1_,comdat
.Lfunc_end1:
	.size	_Z6kernelI10flag_headsiLj256ELj2ELb0ELj100EEvPKT0_PS1_, .Lfunc_end1-_Z6kernelI10flag_headsiLj256ELj2ELb0ELj100EEvPKT0_PS1_
                                        ; -- End function
	.set _Z6kernelI10flag_headsiLj256ELj2ELb0ELj100EEvPKT0_PS1_.num_vgpr, 7
	.set _Z6kernelI10flag_headsiLj256ELj2ELb0ELj100EEvPKT0_PS1_.num_agpr, 0
	.set _Z6kernelI10flag_headsiLj256ELj2ELb0ELj100EEvPKT0_PS1_.numbered_sgpr, 12
	.set _Z6kernelI10flag_headsiLj256ELj2ELb0ELj100EEvPKT0_PS1_.num_named_barrier, 0
	.set _Z6kernelI10flag_headsiLj256ELj2ELb0ELj100EEvPKT0_PS1_.private_seg_size, 0
	.set _Z6kernelI10flag_headsiLj256ELj2ELb0ELj100EEvPKT0_PS1_.uses_vcc, 1
	.set _Z6kernelI10flag_headsiLj256ELj2ELb0ELj100EEvPKT0_PS1_.uses_flat_scratch, 0
	.set _Z6kernelI10flag_headsiLj256ELj2ELb0ELj100EEvPKT0_PS1_.has_dyn_sized_stack, 0
	.set _Z6kernelI10flag_headsiLj256ELj2ELb0ELj100EEvPKT0_PS1_.has_recursion, 0
	.set _Z6kernelI10flag_headsiLj256ELj2ELb0ELj100EEvPKT0_PS1_.has_indirect_call, 0
	.section	.AMDGPU.csdata,"",@progbits
; Kernel info:
; codeLenInByte = 216
; TotalNumSgprs: 16
; NumVgprs: 7
; ScratchSize: 0
; MemoryBound: 0
; FloatMode: 240
; IeeeMode: 1
; LDSByteSize: 2048 bytes/workgroup (compile time only)
; SGPRBlocks: 1
; VGPRBlocks: 1
; NumSGPRsForWavesPerEU: 16
; NumVGPRsForWavesPerEU: 7
; Occupancy: 10
; WaveLimiterHint : 1
; COMPUTE_PGM_RSRC2:SCRATCH_EN: 0
; COMPUTE_PGM_RSRC2:USER_SGPR: 6
; COMPUTE_PGM_RSRC2:TRAP_HANDLER: 0
; COMPUTE_PGM_RSRC2:TGID_X_EN: 1
; COMPUTE_PGM_RSRC2:TGID_Y_EN: 0
; COMPUTE_PGM_RSRC2:TGID_Z_EN: 0
; COMPUTE_PGM_RSRC2:TIDIG_COMP_CNT: 0
	.section	.text._Z6kernelI10flag_headsiLj256ELj3ELb0ELj100EEvPKT0_PS1_,"axG",@progbits,_Z6kernelI10flag_headsiLj256ELj3ELb0ELj100EEvPKT0_PS1_,comdat
	.protected	_Z6kernelI10flag_headsiLj256ELj3ELb0ELj100EEvPKT0_PS1_ ; -- Begin function _Z6kernelI10flag_headsiLj256ELj3ELb0ELj100EEvPKT0_PS1_
	.globl	_Z6kernelI10flag_headsiLj256ELj3ELb0ELj100EEvPKT0_PS1_
	.p2align	8
	.type	_Z6kernelI10flag_headsiLj256ELj3ELb0ELj100EEvPKT0_PS1_,@function
_Z6kernelI10flag_headsiLj256ELj3ELb0ELj100EEvPKT0_PS1_: ; @_Z6kernelI10flag_headsiLj256ELj3ELb0ELj100EEvPKT0_PS1_
; %bb.0:
	s_load_dwordx4 s[8:11], s[4:5], 0x0
	s_mul_i32 s0, s6, 0x300
	s_mov_b32 s1, 0
	s_lshl_b64 s[6:7], s[0:1], 2
	v_lshlrev_b32_e32 v4, 2, v0
	s_waitcnt lgkmcnt(0)
	s_add_u32 s0, s8, s6
	s_addc_u32 s1, s9, s7
	global_load_dword v1, v4, s[0:1]
	global_load_dword v2, v4, s[0:1] offset:1024
	global_load_dword v3, v4, s[0:1] offset:2048
	v_cmp_ne_u32_e32 vcc, 0, v0
	v_add_u32_e32 v5, -4, v4
	s_movk_i32 s12, 0x64
	s_branch .LBB2_2
.LBB2_1:                                ;   in Loop: Header=BB2_2 Depth=1
	s_or_b64 exec, exec, s[8:9]
	v_cndmask_b32_e64 v7, 0, 1, s[0:1]
	v_cndmask_b32_e64 v8, 0, 1, s[2:3]
	s_add_i32 s12, s12, -1
	v_add_u32_sdwa v1, v1, v6 dst_sel:DWORD dst_unused:UNUSED_PAD src0_sel:DWORD src1_sel:BYTE_0
	v_add_u32_sdwa v2, v2, v8 dst_sel:DWORD dst_unused:UNUSED_PAD src0_sel:DWORD src1_sel:BYTE_0
	;; [unrolled: 1-line block ×3, first 2 shown]
	s_cmp_lg_u32 s12, 0
	s_barrier
	s_cbranch_scc0 .LBB2_4
.LBB2_2:                                ; =>This Inner Loop Header: Depth=1
	s_waitcnt vmcnt(0)
	v_cmp_eq_u32_e64 s[0:1], v2, v3
	v_cmp_eq_u32_e64 s[2:3], v1, v2
	v_mov_b32_e32 v6, 1
	ds_write_b32 v4, v3
	s_waitcnt lgkmcnt(0)
	s_barrier
	s_and_saveexec_b64 s[8:9], vcc
	s_cbranch_execz .LBB2_1
; %bb.3:                                ;   in Loop: Header=BB2_2 Depth=1
	ds_read_b32 v6, v5
	s_waitcnt lgkmcnt(0)
	v_cmp_eq_u32_e64 s[4:5], v6, v1
	v_cndmask_b32_e64 v6, 0, 1, s[4:5]
	s_branch .LBB2_1
.LBB2_4:
	s_add_u32 s0, s10, s6
	s_addc_u32 s1, s11, s7
	v_lshlrev_b32_e32 v0, 2, v0
	global_store_dword v0, v1, s[0:1]
	global_store_dword v0, v2, s[0:1] offset:1024
	global_store_dword v0, v3, s[0:1] offset:2048
	s_endpgm
	.section	.rodata,"a",@progbits
	.p2align	6, 0x0
	.amdhsa_kernel _Z6kernelI10flag_headsiLj256ELj3ELb0ELj100EEvPKT0_PS1_
		.amdhsa_group_segment_fixed_size 2048
		.amdhsa_private_segment_fixed_size 0
		.amdhsa_kernarg_size 16
		.amdhsa_user_sgpr_count 6
		.amdhsa_user_sgpr_private_segment_buffer 1
		.amdhsa_user_sgpr_dispatch_ptr 0
		.amdhsa_user_sgpr_queue_ptr 0
		.amdhsa_user_sgpr_kernarg_segment_ptr 1
		.amdhsa_user_sgpr_dispatch_id 0
		.amdhsa_user_sgpr_flat_scratch_init 0
		.amdhsa_user_sgpr_private_segment_size 0
		.amdhsa_uses_dynamic_stack 0
		.amdhsa_system_sgpr_private_segment_wavefront_offset 0
		.amdhsa_system_sgpr_workgroup_id_x 1
		.amdhsa_system_sgpr_workgroup_id_y 0
		.amdhsa_system_sgpr_workgroup_id_z 0
		.amdhsa_system_sgpr_workgroup_info 0
		.amdhsa_system_vgpr_workitem_id 0
		.amdhsa_next_free_vgpr 9
		.amdhsa_next_free_sgpr 13
		.amdhsa_reserve_vcc 1
		.amdhsa_reserve_flat_scratch 0
		.amdhsa_float_round_mode_32 0
		.amdhsa_float_round_mode_16_64 0
		.amdhsa_float_denorm_mode_32 3
		.amdhsa_float_denorm_mode_16_64 3
		.amdhsa_dx10_clamp 1
		.amdhsa_ieee_mode 1
		.amdhsa_fp16_overflow 0
		.amdhsa_exception_fp_ieee_invalid_op 0
		.amdhsa_exception_fp_denorm_src 0
		.amdhsa_exception_fp_ieee_div_zero 0
		.amdhsa_exception_fp_ieee_overflow 0
		.amdhsa_exception_fp_ieee_underflow 0
		.amdhsa_exception_fp_ieee_inexact 0
		.amdhsa_exception_int_div_zero 0
	.end_amdhsa_kernel
	.section	.text._Z6kernelI10flag_headsiLj256ELj3ELb0ELj100EEvPKT0_PS1_,"axG",@progbits,_Z6kernelI10flag_headsiLj256ELj3ELb0ELj100EEvPKT0_PS1_,comdat
.Lfunc_end2:
	.size	_Z6kernelI10flag_headsiLj256ELj3ELb0ELj100EEvPKT0_PS1_, .Lfunc_end2-_Z6kernelI10flag_headsiLj256ELj3ELb0ELj100EEvPKT0_PS1_
                                        ; -- End function
	.set _Z6kernelI10flag_headsiLj256ELj3ELb0ELj100EEvPKT0_PS1_.num_vgpr, 9
	.set _Z6kernelI10flag_headsiLj256ELj3ELb0ELj100EEvPKT0_PS1_.num_agpr, 0
	.set _Z6kernelI10flag_headsiLj256ELj3ELb0ELj100EEvPKT0_PS1_.numbered_sgpr, 13
	.set _Z6kernelI10flag_headsiLj256ELj3ELb0ELj100EEvPKT0_PS1_.num_named_barrier, 0
	.set _Z6kernelI10flag_headsiLj256ELj3ELb0ELj100EEvPKT0_PS1_.private_seg_size, 0
	.set _Z6kernelI10flag_headsiLj256ELj3ELb0ELj100EEvPKT0_PS1_.uses_vcc, 1
	.set _Z6kernelI10flag_headsiLj256ELj3ELb0ELj100EEvPKT0_PS1_.uses_flat_scratch, 0
	.set _Z6kernelI10flag_headsiLj256ELj3ELb0ELj100EEvPKT0_PS1_.has_dyn_sized_stack, 0
	.set _Z6kernelI10flag_headsiLj256ELj3ELb0ELj100EEvPKT0_PS1_.has_recursion, 0
	.set _Z6kernelI10flag_headsiLj256ELj3ELb0ELj100EEvPKT0_PS1_.has_indirect_call, 0
	.section	.AMDGPU.csdata,"",@progbits
; Kernel info:
; codeLenInByte = 260
; TotalNumSgprs: 17
; NumVgprs: 9
; ScratchSize: 0
; MemoryBound: 0
; FloatMode: 240
; IeeeMode: 1
; LDSByteSize: 2048 bytes/workgroup (compile time only)
; SGPRBlocks: 2
; VGPRBlocks: 2
; NumSGPRsForWavesPerEU: 17
; NumVGPRsForWavesPerEU: 9
; Occupancy: 10
; WaveLimiterHint : 1
; COMPUTE_PGM_RSRC2:SCRATCH_EN: 0
; COMPUTE_PGM_RSRC2:USER_SGPR: 6
; COMPUTE_PGM_RSRC2:TRAP_HANDLER: 0
; COMPUTE_PGM_RSRC2:TGID_X_EN: 1
; COMPUTE_PGM_RSRC2:TGID_Y_EN: 0
; COMPUTE_PGM_RSRC2:TGID_Z_EN: 0
; COMPUTE_PGM_RSRC2:TIDIG_COMP_CNT: 0
	.section	.text._Z6kernelI10flag_headsiLj256ELj4ELb0ELj100EEvPKT0_PS1_,"axG",@progbits,_Z6kernelI10flag_headsiLj256ELj4ELb0ELj100EEvPKT0_PS1_,comdat
	.protected	_Z6kernelI10flag_headsiLj256ELj4ELb0ELj100EEvPKT0_PS1_ ; -- Begin function _Z6kernelI10flag_headsiLj256ELj4ELb0ELj100EEvPKT0_PS1_
	.globl	_Z6kernelI10flag_headsiLj256ELj4ELb0ELj100EEvPKT0_PS1_
	.p2align	8
	.type	_Z6kernelI10flag_headsiLj256ELj4ELb0ELj100EEvPKT0_PS1_,@function
_Z6kernelI10flag_headsiLj256ELj4ELb0ELj100EEvPKT0_PS1_: ; @_Z6kernelI10flag_headsiLj256ELj4ELb0ELj100EEvPKT0_PS1_
; %bb.0:
	s_load_dwordx4 s[8:11], s[4:5], 0x0
	s_lshl_b32 s0, s6, 10
	s_mov_b32 s1, 0
	s_lshl_b64 s[12:13], s[0:1], 2
	v_lshlrev_b32_e32 v5, 2, v0
	s_waitcnt lgkmcnt(0)
	s_add_u32 s0, s8, s12
	s_addc_u32 s1, s9, s13
	global_load_dword v1, v5, s[0:1]
	global_load_dword v2, v5, s[0:1] offset:1024
	global_load_dword v3, v5, s[0:1] offset:2048
	global_load_dword v4, v5, s[0:1] offset:3072
	v_cmp_ne_u32_e32 vcc, 0, v0
	v_add_u32_e32 v6, -4, v5
	s_movk_i32 s14, 0x64
	s_branch .LBB3_2
.LBB3_1:                                ;   in Loop: Header=BB3_2 Depth=1
	s_or_b64 exec, exec, s[8:9]
	v_cndmask_b32_e64 v8, 0, 1, s[0:1]
	v_cndmask_b32_e64 v9, 0, 1, s[2:3]
	;; [unrolled: 1-line block ×3, first 2 shown]
	s_add_i32 s14, s14, -1
	v_add_u32_sdwa v1, v1, v7 dst_sel:DWORD dst_unused:UNUSED_PAD src0_sel:DWORD src1_sel:BYTE_0
	v_add_u32_sdwa v2, v2, v10 dst_sel:DWORD dst_unused:UNUSED_PAD src0_sel:DWORD src1_sel:BYTE_0
	;; [unrolled: 1-line block ×4, first 2 shown]
	s_cmp_lg_u32 s14, 0
	s_barrier
	s_cbranch_scc0 .LBB3_4
.LBB3_2:                                ; =>This Inner Loop Header: Depth=1
	s_waitcnt vmcnt(0)
	v_cmp_eq_u32_e64 s[0:1], v3, v4
	v_cmp_eq_u32_e64 s[2:3], v2, v3
	;; [unrolled: 1-line block ×3, first 2 shown]
	v_mov_b32_e32 v7, 1
	ds_write_b32 v5, v4
	s_waitcnt lgkmcnt(0)
	s_barrier
	s_and_saveexec_b64 s[8:9], vcc
	s_cbranch_execz .LBB3_1
; %bb.3:                                ;   in Loop: Header=BB3_2 Depth=1
	ds_read_b32 v7, v6
	s_waitcnt lgkmcnt(0)
	v_cmp_eq_u32_e64 s[6:7], v7, v1
	v_cndmask_b32_e64 v7, 0, 1, s[6:7]
	s_branch .LBB3_1
.LBB3_4:
	s_add_u32 s0, s10, s12
	s_addc_u32 s1, s11, s13
	v_lshlrev_b32_e32 v0, 2, v0
	global_store_dword v0, v1, s[0:1]
	global_store_dword v0, v2, s[0:1] offset:1024
	global_store_dword v0, v3, s[0:1] offset:2048
	;; [unrolled: 1-line block ×3, first 2 shown]
	s_endpgm
	.section	.rodata,"a",@progbits
	.p2align	6, 0x0
	.amdhsa_kernel _Z6kernelI10flag_headsiLj256ELj4ELb0ELj100EEvPKT0_PS1_
		.amdhsa_group_segment_fixed_size 2048
		.amdhsa_private_segment_fixed_size 0
		.amdhsa_kernarg_size 16
		.amdhsa_user_sgpr_count 6
		.amdhsa_user_sgpr_private_segment_buffer 1
		.amdhsa_user_sgpr_dispatch_ptr 0
		.amdhsa_user_sgpr_queue_ptr 0
		.amdhsa_user_sgpr_kernarg_segment_ptr 1
		.amdhsa_user_sgpr_dispatch_id 0
		.amdhsa_user_sgpr_flat_scratch_init 0
		.amdhsa_user_sgpr_private_segment_size 0
		.amdhsa_uses_dynamic_stack 0
		.amdhsa_system_sgpr_private_segment_wavefront_offset 0
		.amdhsa_system_sgpr_workgroup_id_x 1
		.amdhsa_system_sgpr_workgroup_id_y 0
		.amdhsa_system_sgpr_workgroup_id_z 0
		.amdhsa_system_sgpr_workgroup_info 0
		.amdhsa_system_vgpr_workitem_id 0
		.amdhsa_next_free_vgpr 11
		.amdhsa_next_free_sgpr 15
		.amdhsa_reserve_vcc 1
		.amdhsa_reserve_flat_scratch 0
		.amdhsa_float_round_mode_32 0
		.amdhsa_float_round_mode_16_64 0
		.amdhsa_float_denorm_mode_32 3
		.amdhsa_float_denorm_mode_16_64 3
		.amdhsa_dx10_clamp 1
		.amdhsa_ieee_mode 1
		.amdhsa_fp16_overflow 0
		.amdhsa_exception_fp_ieee_invalid_op 0
		.amdhsa_exception_fp_denorm_src 0
		.amdhsa_exception_fp_ieee_div_zero 0
		.amdhsa_exception_fp_ieee_overflow 0
		.amdhsa_exception_fp_ieee_underflow 0
		.amdhsa_exception_fp_ieee_inexact 0
		.amdhsa_exception_int_div_zero 0
	.end_amdhsa_kernel
	.section	.text._Z6kernelI10flag_headsiLj256ELj4ELb0ELj100EEvPKT0_PS1_,"axG",@progbits,_Z6kernelI10flag_headsiLj256ELj4ELb0ELj100EEvPKT0_PS1_,comdat
.Lfunc_end3:
	.size	_Z6kernelI10flag_headsiLj256ELj4ELb0ELj100EEvPKT0_PS1_, .Lfunc_end3-_Z6kernelI10flag_headsiLj256ELj4ELb0ELj100EEvPKT0_PS1_
                                        ; -- End function
	.set _Z6kernelI10flag_headsiLj256ELj4ELb0ELj100EEvPKT0_PS1_.num_vgpr, 11
	.set _Z6kernelI10flag_headsiLj256ELj4ELb0ELj100EEvPKT0_PS1_.num_agpr, 0
	.set _Z6kernelI10flag_headsiLj256ELj4ELb0ELj100EEvPKT0_PS1_.numbered_sgpr, 15
	.set _Z6kernelI10flag_headsiLj256ELj4ELb0ELj100EEvPKT0_PS1_.num_named_barrier, 0
	.set _Z6kernelI10flag_headsiLj256ELj4ELb0ELj100EEvPKT0_PS1_.private_seg_size, 0
	.set _Z6kernelI10flag_headsiLj256ELj4ELb0ELj100EEvPKT0_PS1_.uses_vcc, 1
	.set _Z6kernelI10flag_headsiLj256ELj4ELb0ELj100EEvPKT0_PS1_.uses_flat_scratch, 0
	.set _Z6kernelI10flag_headsiLj256ELj4ELb0ELj100EEvPKT0_PS1_.has_dyn_sized_stack, 0
	.set _Z6kernelI10flag_headsiLj256ELj4ELb0ELj100EEvPKT0_PS1_.has_recursion, 0
	.set _Z6kernelI10flag_headsiLj256ELj4ELb0ELj100EEvPKT0_PS1_.has_indirect_call, 0
	.section	.AMDGPU.csdata,"",@progbits
; Kernel info:
; codeLenInByte = 296
; TotalNumSgprs: 19
; NumVgprs: 11
; ScratchSize: 0
; MemoryBound: 0
; FloatMode: 240
; IeeeMode: 1
; LDSByteSize: 2048 bytes/workgroup (compile time only)
; SGPRBlocks: 2
; VGPRBlocks: 2
; NumSGPRsForWavesPerEU: 19
; NumVGPRsForWavesPerEU: 11
; Occupancy: 10
; WaveLimiterHint : 1
; COMPUTE_PGM_RSRC2:SCRATCH_EN: 0
; COMPUTE_PGM_RSRC2:USER_SGPR: 6
; COMPUTE_PGM_RSRC2:TRAP_HANDLER: 0
; COMPUTE_PGM_RSRC2:TGID_X_EN: 1
; COMPUTE_PGM_RSRC2:TGID_Y_EN: 0
; COMPUTE_PGM_RSRC2:TGID_Z_EN: 0
; COMPUTE_PGM_RSRC2:TIDIG_COMP_CNT: 0
	.section	.text._Z6kernelI10flag_headsiLj256ELj8ELb0ELj100EEvPKT0_PS1_,"axG",@progbits,_Z6kernelI10flag_headsiLj256ELj8ELb0ELj100EEvPKT0_PS1_,comdat
	.protected	_Z6kernelI10flag_headsiLj256ELj8ELb0ELj100EEvPKT0_PS1_ ; -- Begin function _Z6kernelI10flag_headsiLj256ELj8ELb0ELj100EEvPKT0_PS1_
	.globl	_Z6kernelI10flag_headsiLj256ELj8ELb0ELj100EEvPKT0_PS1_
	.p2align	8
	.type	_Z6kernelI10flag_headsiLj256ELj8ELb0ELj100EEvPKT0_PS1_,@function
_Z6kernelI10flag_headsiLj256ELj8ELb0ELj100EEvPKT0_PS1_: ; @_Z6kernelI10flag_headsiLj256ELj8ELb0ELj100EEvPKT0_PS1_
; %bb.0:
	s_load_dwordx4 s[12:15], s[4:5], 0x0
	s_lshl_b32 s0, s6, 11
	s_mov_b32 s1, 0
	s_lshl_b64 s[16:17], s[0:1], 2
	v_lshlrev_b32_e32 v5, 2, v0
	s_waitcnt lgkmcnt(0)
	s_add_u32 s0, s12, s16
	s_addc_u32 s1, s13, s17
	v_mov_b32_e32 v1, s1
	v_add_co_u32_e32 v2, vcc, s0, v5
	v_addc_co_u32_e32 v1, vcc, 0, v1, vcc
	v_add_co_u32_e32 v10, vcc, 0x1000, v2
	v_addc_co_u32_e32 v11, vcc, 0, v1, vcc
	global_load_dword v6, v5, s[0:1]
	global_load_dword v7, v5, s[0:1] offset:1024
	global_load_dword v8, v5, s[0:1] offset:2048
	;; [unrolled: 1-line block ×3, first 2 shown]
	global_load_dword v1, v[10:11], off
	global_load_dword v2, v[10:11], off offset:1024
	global_load_dword v3, v[10:11], off offset:2048
	;; [unrolled: 1-line block ×3, first 2 shown]
	v_cmp_ne_u32_e32 vcc, 0, v0
	v_add_u32_e32 v10, -4, v5
	s_movk_i32 s18, 0x64
	s_branch .LBB4_2
.LBB4_1:                                ;   in Loop: Header=BB4_2 Depth=1
	s_or_b64 exec, exec, s[2:3]
	v_cmp_eq_u32_e64 s[0:1], v3, v4
	v_cmp_eq_u32_e64 s[2:3], v2, v3
	v_cmp_eq_u32_e64 s[4:5], v1, v2
	v_cmp_eq_u32_e64 s[6:7], v9, v1
	v_cmp_eq_u32_e64 s[8:9], v8, v9
	v_cmp_eq_u32_e64 s[10:11], v7, v8
	v_cmp_eq_u32_e64 s[12:13], v6, v7
	s_add_i32 s18, s18, -1
	v_add_u32_e32 v6, v11, v6
	v_addc_co_u32_e64 v7, s[12:13], 0, v7, s[12:13]
	v_addc_co_u32_e64 v8, s[10:11], 0, v8, s[10:11]
	;; [unrolled: 1-line block ×7, first 2 shown]
	s_cmp_lg_u32 s18, 0
	s_barrier
	s_cbranch_scc0 .LBB4_4
.LBB4_2:                                ; =>This Inner Loop Header: Depth=1
	v_mov_b32_e32 v11, 1
	s_waitcnt vmcnt(0)
	ds_write_b32 v5, v4
	s_waitcnt lgkmcnt(0)
	s_barrier
	s_and_saveexec_b64 s[2:3], vcc
	s_cbranch_execz .LBB4_1
; %bb.3:                                ;   in Loop: Header=BB4_2 Depth=1
	ds_read_b32 v11, v10
	s_waitcnt lgkmcnt(0)
	v_cmp_eq_u32_e64 s[0:1], v11, v6
	v_cndmask_b32_e64 v11, 0, 1, s[0:1]
	s_branch .LBB4_1
.LBB4_4:
	s_add_u32 s0, s14, s16
	s_addc_u32 s1, s15, s17
	v_lshlrev_b32_e32 v0, 2, v0
	v_mov_b32_e32 v5, s1
	v_add_co_u32_e32 v10, vcc, s0, v0
	v_addc_co_u32_e32 v11, vcc, 0, v5, vcc
	v_add_co_u32_e32 v5, vcc, 0x1000, v10
	global_store_dword v0, v6, s[0:1]
	global_store_dword v0, v7, s[0:1] offset:1024
	global_store_dword v0, v8, s[0:1] offset:2048
	;; [unrolled: 1-line block ×3, first 2 shown]
	v_addc_co_u32_e32 v6, vcc, 0, v11, vcc
	global_store_dword v[5:6], v1, off
	global_store_dword v[5:6], v2, off offset:1024
	global_store_dword v[5:6], v3, off offset:2048
	;; [unrolled: 1-line block ×3, first 2 shown]
	s_endpgm
	.section	.rodata,"a",@progbits
	.p2align	6, 0x0
	.amdhsa_kernel _Z6kernelI10flag_headsiLj256ELj8ELb0ELj100EEvPKT0_PS1_
		.amdhsa_group_segment_fixed_size 2048
		.amdhsa_private_segment_fixed_size 0
		.amdhsa_kernarg_size 16
		.amdhsa_user_sgpr_count 6
		.amdhsa_user_sgpr_private_segment_buffer 1
		.amdhsa_user_sgpr_dispatch_ptr 0
		.amdhsa_user_sgpr_queue_ptr 0
		.amdhsa_user_sgpr_kernarg_segment_ptr 1
		.amdhsa_user_sgpr_dispatch_id 0
		.amdhsa_user_sgpr_flat_scratch_init 0
		.amdhsa_user_sgpr_private_segment_size 0
		.amdhsa_uses_dynamic_stack 0
		.amdhsa_system_sgpr_private_segment_wavefront_offset 0
		.amdhsa_system_sgpr_workgroup_id_x 1
		.amdhsa_system_sgpr_workgroup_id_y 0
		.amdhsa_system_sgpr_workgroup_id_z 0
		.amdhsa_system_sgpr_workgroup_info 0
		.amdhsa_system_vgpr_workitem_id 0
		.amdhsa_next_free_vgpr 12
		.amdhsa_next_free_sgpr 19
		.amdhsa_reserve_vcc 1
		.amdhsa_reserve_flat_scratch 0
		.amdhsa_float_round_mode_32 0
		.amdhsa_float_round_mode_16_64 0
		.amdhsa_float_denorm_mode_32 3
		.amdhsa_float_denorm_mode_16_64 3
		.amdhsa_dx10_clamp 1
		.amdhsa_ieee_mode 1
		.amdhsa_fp16_overflow 0
		.amdhsa_exception_fp_ieee_invalid_op 0
		.amdhsa_exception_fp_denorm_src 0
		.amdhsa_exception_fp_ieee_div_zero 0
		.amdhsa_exception_fp_ieee_overflow 0
		.amdhsa_exception_fp_ieee_underflow 0
		.amdhsa_exception_fp_ieee_inexact 0
		.amdhsa_exception_int_div_zero 0
	.end_amdhsa_kernel
	.section	.text._Z6kernelI10flag_headsiLj256ELj8ELb0ELj100EEvPKT0_PS1_,"axG",@progbits,_Z6kernelI10flag_headsiLj256ELj8ELb0ELj100EEvPKT0_PS1_,comdat
.Lfunc_end4:
	.size	_Z6kernelI10flag_headsiLj256ELj8ELb0ELj100EEvPKT0_PS1_, .Lfunc_end4-_Z6kernelI10flag_headsiLj256ELj8ELb0ELj100EEvPKT0_PS1_
                                        ; -- End function
	.set _Z6kernelI10flag_headsiLj256ELj8ELb0ELj100EEvPKT0_PS1_.num_vgpr, 12
	.set _Z6kernelI10flag_headsiLj256ELj8ELb0ELj100EEvPKT0_PS1_.num_agpr, 0
	.set _Z6kernelI10flag_headsiLj256ELj8ELb0ELj100EEvPKT0_PS1_.numbered_sgpr, 19
	.set _Z6kernelI10flag_headsiLj256ELj8ELb0ELj100EEvPKT0_PS1_.num_named_barrier, 0
	.set _Z6kernelI10flag_headsiLj256ELj8ELb0ELj100EEvPKT0_PS1_.private_seg_size, 0
	.set _Z6kernelI10flag_headsiLj256ELj8ELb0ELj100EEvPKT0_PS1_.uses_vcc, 1
	.set _Z6kernelI10flag_headsiLj256ELj8ELb0ELj100EEvPKT0_PS1_.uses_flat_scratch, 0
	.set _Z6kernelI10flag_headsiLj256ELj8ELb0ELj100EEvPKT0_PS1_.has_dyn_sized_stack, 0
	.set _Z6kernelI10flag_headsiLj256ELj8ELb0ELj100EEvPKT0_PS1_.has_recursion, 0
	.set _Z6kernelI10flag_headsiLj256ELj8ELb0ELj100EEvPKT0_PS1_.has_indirect_call, 0
	.section	.AMDGPU.csdata,"",@progbits
; Kernel info:
; codeLenInByte = 444
; TotalNumSgprs: 23
; NumVgprs: 12
; ScratchSize: 0
; MemoryBound: 0
; FloatMode: 240
; IeeeMode: 1
; LDSByteSize: 2048 bytes/workgroup (compile time only)
; SGPRBlocks: 2
; VGPRBlocks: 2
; NumSGPRsForWavesPerEU: 23
; NumVGPRsForWavesPerEU: 12
; Occupancy: 10
; WaveLimiterHint : 1
; COMPUTE_PGM_RSRC2:SCRATCH_EN: 0
; COMPUTE_PGM_RSRC2:USER_SGPR: 6
; COMPUTE_PGM_RSRC2:TRAP_HANDLER: 0
; COMPUTE_PGM_RSRC2:TGID_X_EN: 1
; COMPUTE_PGM_RSRC2:TGID_Y_EN: 0
; COMPUTE_PGM_RSRC2:TGID_Z_EN: 0
; COMPUTE_PGM_RSRC2:TIDIG_COMP_CNT: 0
	.section	.text._Z6kernelI10flag_headsiLj256ELj1ELb1ELj100EEvPKT0_PS1_,"axG",@progbits,_Z6kernelI10flag_headsiLj256ELj1ELb1ELj100EEvPKT0_PS1_,comdat
	.protected	_Z6kernelI10flag_headsiLj256ELj1ELb1ELj100EEvPKT0_PS1_ ; -- Begin function _Z6kernelI10flag_headsiLj256ELj1ELb1ELj100EEvPKT0_PS1_
	.globl	_Z6kernelI10flag_headsiLj256ELj1ELb1ELj100EEvPKT0_PS1_
	.p2align	8
	.type	_Z6kernelI10flag_headsiLj256ELj1ELb1ELj100EEvPKT0_PS1_,@function
_Z6kernelI10flag_headsiLj256ELj1ELb1ELj100EEvPKT0_PS1_: ; @_Z6kernelI10flag_headsiLj256ELj1ELb1ELj100EEvPKT0_PS1_
; %bb.0:
	s_load_dwordx4 s[0:3], s[4:5], 0x0
	s_lshl_b32 s4, s6, 8
	s_mov_b32 s5, 0
	s_lshl_b64 s[4:5], s[4:5], 2
	v_lshlrev_b32_e32 v2, 2, v0
	s_waitcnt lgkmcnt(0)
	s_add_u32 s0, s0, s4
	s_addc_u32 s1, s1, s5
	global_load_dword v1, v2, s[0:1]
	v_cmp_ne_u32_e32 vcc, 0, v0
	v_add_u32_e32 v3, -4, v2
	s_movk_i32 s6, 0x64
	s_branch .LBB5_2
.LBB5_1:                                ;   in Loop: Header=BB5_2 Depth=1
	s_or_b64 exec, exec, s[0:1]
	s_waitcnt lgkmcnt(0)
	v_cmp_eq_u32_e64 s[0:1], v4, v1
	s_add_i32 s6, s6, -1
	v_addc_co_u32_e64 v1, s[0:1], 0, v1, s[0:1]
	s_cmp_lg_u32 s6, 0
	s_barrier
	s_cbranch_scc0 .LBB5_4
.LBB5_2:                                ; =>This Inner Loop Header: Depth=1
	v_mov_b32_e32 v4, 0x7b
	s_waitcnt vmcnt(0)
	ds_write_b32 v2, v1
	s_waitcnt lgkmcnt(0)
	s_barrier
	s_and_saveexec_b64 s[0:1], vcc
	s_cbranch_execz .LBB5_1
; %bb.3:                                ;   in Loop: Header=BB5_2 Depth=1
	ds_read_b32 v4, v3
	s_branch .LBB5_1
.LBB5_4:
	s_add_u32 s0, s2, s4
	s_addc_u32 s1, s3, s5
	v_lshlrev_b32_e32 v0, 2, v0
	global_store_dword v0, v1, s[0:1]
	s_endpgm
	.section	.rodata,"a",@progbits
	.p2align	6, 0x0
	.amdhsa_kernel _Z6kernelI10flag_headsiLj256ELj1ELb1ELj100EEvPKT0_PS1_
		.amdhsa_group_segment_fixed_size 2048
		.amdhsa_private_segment_fixed_size 0
		.amdhsa_kernarg_size 16
		.amdhsa_user_sgpr_count 6
		.amdhsa_user_sgpr_private_segment_buffer 1
		.amdhsa_user_sgpr_dispatch_ptr 0
		.amdhsa_user_sgpr_queue_ptr 0
		.amdhsa_user_sgpr_kernarg_segment_ptr 1
		.amdhsa_user_sgpr_dispatch_id 0
		.amdhsa_user_sgpr_flat_scratch_init 0
		.amdhsa_user_sgpr_private_segment_size 0
		.amdhsa_uses_dynamic_stack 0
		.amdhsa_system_sgpr_private_segment_wavefront_offset 0
		.amdhsa_system_sgpr_workgroup_id_x 1
		.amdhsa_system_sgpr_workgroup_id_y 0
		.amdhsa_system_sgpr_workgroup_id_z 0
		.amdhsa_system_sgpr_workgroup_info 0
		.amdhsa_system_vgpr_workitem_id 0
		.amdhsa_next_free_vgpr 5
		.amdhsa_next_free_sgpr 7
		.amdhsa_reserve_vcc 1
		.amdhsa_reserve_flat_scratch 0
		.amdhsa_float_round_mode_32 0
		.amdhsa_float_round_mode_16_64 0
		.amdhsa_float_denorm_mode_32 3
		.amdhsa_float_denorm_mode_16_64 3
		.amdhsa_dx10_clamp 1
		.amdhsa_ieee_mode 1
		.amdhsa_fp16_overflow 0
		.amdhsa_exception_fp_ieee_invalid_op 0
		.amdhsa_exception_fp_denorm_src 0
		.amdhsa_exception_fp_ieee_div_zero 0
		.amdhsa_exception_fp_ieee_overflow 0
		.amdhsa_exception_fp_ieee_underflow 0
		.amdhsa_exception_fp_ieee_inexact 0
		.amdhsa_exception_int_div_zero 0
	.end_amdhsa_kernel
	.section	.text._Z6kernelI10flag_headsiLj256ELj1ELb1ELj100EEvPKT0_PS1_,"axG",@progbits,_Z6kernelI10flag_headsiLj256ELj1ELb1ELj100EEvPKT0_PS1_,comdat
.Lfunc_end5:
	.size	_Z6kernelI10flag_headsiLj256ELj1ELb1ELj100EEvPKT0_PS1_, .Lfunc_end5-_Z6kernelI10flag_headsiLj256ELj1ELb1ELj100EEvPKT0_PS1_
                                        ; -- End function
	.set _Z6kernelI10flag_headsiLj256ELj1ELb1ELj100EEvPKT0_PS1_.num_vgpr, 5
	.set _Z6kernelI10flag_headsiLj256ELj1ELb1ELj100EEvPKT0_PS1_.num_agpr, 0
	.set _Z6kernelI10flag_headsiLj256ELj1ELb1ELj100EEvPKT0_PS1_.numbered_sgpr, 7
	.set _Z6kernelI10flag_headsiLj256ELj1ELb1ELj100EEvPKT0_PS1_.num_named_barrier, 0
	.set _Z6kernelI10flag_headsiLj256ELj1ELb1ELj100EEvPKT0_PS1_.private_seg_size, 0
	.set _Z6kernelI10flag_headsiLj256ELj1ELb1ELj100EEvPKT0_PS1_.uses_vcc, 1
	.set _Z6kernelI10flag_headsiLj256ELj1ELb1ELj100EEvPKT0_PS1_.uses_flat_scratch, 0
	.set _Z6kernelI10flag_headsiLj256ELj1ELb1ELj100EEvPKT0_PS1_.has_dyn_sized_stack, 0
	.set _Z6kernelI10flag_headsiLj256ELj1ELb1ELj100EEvPKT0_PS1_.has_recursion, 0
	.set _Z6kernelI10flag_headsiLj256ELj1ELb1ELj100EEvPKT0_PS1_.has_indirect_call, 0
	.section	.AMDGPU.csdata,"",@progbits
; Kernel info:
; codeLenInByte = 172
; TotalNumSgprs: 11
; NumVgprs: 5
; ScratchSize: 0
; MemoryBound: 0
; FloatMode: 240
; IeeeMode: 1
; LDSByteSize: 2048 bytes/workgroup (compile time only)
; SGPRBlocks: 1
; VGPRBlocks: 1
; NumSGPRsForWavesPerEU: 11
; NumVGPRsForWavesPerEU: 5
; Occupancy: 10
; WaveLimiterHint : 0
; COMPUTE_PGM_RSRC2:SCRATCH_EN: 0
; COMPUTE_PGM_RSRC2:USER_SGPR: 6
; COMPUTE_PGM_RSRC2:TRAP_HANDLER: 0
; COMPUTE_PGM_RSRC2:TGID_X_EN: 1
; COMPUTE_PGM_RSRC2:TGID_Y_EN: 0
; COMPUTE_PGM_RSRC2:TGID_Z_EN: 0
; COMPUTE_PGM_RSRC2:TIDIG_COMP_CNT: 0
	.section	.text._Z6kernelI10flag_headsiLj256ELj2ELb1ELj100EEvPKT0_PS1_,"axG",@progbits,_Z6kernelI10flag_headsiLj256ELj2ELb1ELj100EEvPKT0_PS1_,comdat
	.protected	_Z6kernelI10flag_headsiLj256ELj2ELb1ELj100EEvPKT0_PS1_ ; -- Begin function _Z6kernelI10flag_headsiLj256ELj2ELb1ELj100EEvPKT0_PS1_
	.globl	_Z6kernelI10flag_headsiLj256ELj2ELb1ELj100EEvPKT0_PS1_
	.p2align	8
	.type	_Z6kernelI10flag_headsiLj256ELj2ELb1ELj100EEvPKT0_PS1_,@function
_Z6kernelI10flag_headsiLj256ELj2ELb1ELj100EEvPKT0_PS1_: ; @_Z6kernelI10flag_headsiLj256ELj2ELb1ELj100EEvPKT0_PS1_
; %bb.0:
	s_load_dwordx4 s[8:11], s[4:5], 0x0
	s_lshl_b32 s0, s6, 9
	s_mov_b32 s1, 0
	s_lshl_b64 s[4:5], s[0:1], 2
	v_lshlrev_b32_e32 v3, 2, v0
	s_waitcnt lgkmcnt(0)
	s_add_u32 s0, s8, s4
	s_addc_u32 s1, s9, s5
	global_load_dword v1, v3, s[0:1]
	global_load_dword v2, v3, s[0:1] offset:1024
	v_cmp_ne_u32_e32 vcc, 0, v0
	v_add_u32_e32 v4, -4, v3
	s_movk_i32 s6, 0x64
	s_branch .LBB6_2
.LBB6_1:                                ;   in Loop: Header=BB6_2 Depth=1
	s_or_b64 exec, exec, s[0:1]
	v_cmp_eq_u32_e64 s[0:1], v1, v2
	s_waitcnt lgkmcnt(0)
	v_cmp_eq_u32_e64 s[2:3], v5, v1
	s_add_i32 s6, s6, -1
	v_addc_co_u32_e64 v1, s[2:3], 0, v1, s[2:3]
	v_addc_co_u32_e64 v2, s[0:1], 0, v2, s[0:1]
	s_cmp_lg_u32 s6, 0
	s_barrier
	s_cbranch_scc0 .LBB6_4
.LBB6_2:                                ; =>This Inner Loop Header: Depth=1
	v_mov_b32_e32 v5, 0x7b
	s_waitcnt vmcnt(0)
	ds_write_b32 v3, v2
	s_waitcnt lgkmcnt(0)
	s_barrier
	s_and_saveexec_b64 s[0:1], vcc
	s_cbranch_execz .LBB6_1
; %bb.3:                                ;   in Loop: Header=BB6_2 Depth=1
	ds_read_b32 v5, v4
	s_branch .LBB6_1
.LBB6_4:
	s_add_u32 s0, s10, s4
	s_addc_u32 s1, s11, s5
	v_lshlrev_b32_e32 v0, 2, v0
	global_store_dword v0, v1, s[0:1]
	global_store_dword v0, v2, s[0:1] offset:1024
	s_endpgm
	.section	.rodata,"a",@progbits
	.p2align	6, 0x0
	.amdhsa_kernel _Z6kernelI10flag_headsiLj256ELj2ELb1ELj100EEvPKT0_PS1_
		.amdhsa_group_segment_fixed_size 2048
		.amdhsa_private_segment_fixed_size 0
		.amdhsa_kernarg_size 16
		.amdhsa_user_sgpr_count 6
		.amdhsa_user_sgpr_private_segment_buffer 1
		.amdhsa_user_sgpr_dispatch_ptr 0
		.amdhsa_user_sgpr_queue_ptr 0
		.amdhsa_user_sgpr_kernarg_segment_ptr 1
		.amdhsa_user_sgpr_dispatch_id 0
		.amdhsa_user_sgpr_flat_scratch_init 0
		.amdhsa_user_sgpr_private_segment_size 0
		.amdhsa_uses_dynamic_stack 0
		.amdhsa_system_sgpr_private_segment_wavefront_offset 0
		.amdhsa_system_sgpr_workgroup_id_x 1
		.amdhsa_system_sgpr_workgroup_id_y 0
		.amdhsa_system_sgpr_workgroup_id_z 0
		.amdhsa_system_sgpr_workgroup_info 0
		.amdhsa_system_vgpr_workitem_id 0
		.amdhsa_next_free_vgpr 6
		.amdhsa_next_free_sgpr 12
		.amdhsa_reserve_vcc 1
		.amdhsa_reserve_flat_scratch 0
		.amdhsa_float_round_mode_32 0
		.amdhsa_float_round_mode_16_64 0
		.amdhsa_float_denorm_mode_32 3
		.amdhsa_float_denorm_mode_16_64 3
		.amdhsa_dx10_clamp 1
		.amdhsa_ieee_mode 1
		.amdhsa_fp16_overflow 0
		.amdhsa_exception_fp_ieee_invalid_op 0
		.amdhsa_exception_fp_denorm_src 0
		.amdhsa_exception_fp_ieee_div_zero 0
		.amdhsa_exception_fp_ieee_overflow 0
		.amdhsa_exception_fp_ieee_underflow 0
		.amdhsa_exception_fp_ieee_inexact 0
		.amdhsa_exception_int_div_zero 0
	.end_amdhsa_kernel
	.section	.text._Z6kernelI10flag_headsiLj256ELj2ELb1ELj100EEvPKT0_PS1_,"axG",@progbits,_Z6kernelI10flag_headsiLj256ELj2ELb1ELj100EEvPKT0_PS1_,comdat
.Lfunc_end6:
	.size	_Z6kernelI10flag_headsiLj256ELj2ELb1ELj100EEvPKT0_PS1_, .Lfunc_end6-_Z6kernelI10flag_headsiLj256ELj2ELb1ELj100EEvPKT0_PS1_
                                        ; -- End function
	.set _Z6kernelI10flag_headsiLj256ELj2ELb1ELj100EEvPKT0_PS1_.num_vgpr, 6
	.set _Z6kernelI10flag_headsiLj256ELj2ELb1ELj100EEvPKT0_PS1_.num_agpr, 0
	.set _Z6kernelI10flag_headsiLj256ELj2ELb1ELj100EEvPKT0_PS1_.numbered_sgpr, 12
	.set _Z6kernelI10flag_headsiLj256ELj2ELb1ELj100EEvPKT0_PS1_.num_named_barrier, 0
	.set _Z6kernelI10flag_headsiLj256ELj2ELb1ELj100EEvPKT0_PS1_.private_seg_size, 0
	.set _Z6kernelI10flag_headsiLj256ELj2ELb1ELj100EEvPKT0_PS1_.uses_vcc, 1
	.set _Z6kernelI10flag_headsiLj256ELj2ELb1ELj100EEvPKT0_PS1_.uses_flat_scratch, 0
	.set _Z6kernelI10flag_headsiLj256ELj2ELb1ELj100EEvPKT0_PS1_.has_dyn_sized_stack, 0
	.set _Z6kernelI10flag_headsiLj256ELj2ELb1ELj100EEvPKT0_PS1_.has_recursion, 0
	.set _Z6kernelI10flag_headsiLj256ELj2ELb1ELj100EEvPKT0_PS1_.has_indirect_call, 0
	.section	.AMDGPU.csdata,"",@progbits
; Kernel info:
; codeLenInByte = 204
; TotalNumSgprs: 16
; NumVgprs: 6
; ScratchSize: 0
; MemoryBound: 0
; FloatMode: 240
; IeeeMode: 1
; LDSByteSize: 2048 bytes/workgroup (compile time only)
; SGPRBlocks: 1
; VGPRBlocks: 1
; NumSGPRsForWavesPerEU: 16
; NumVGPRsForWavesPerEU: 6
; Occupancy: 10
; WaveLimiterHint : 1
; COMPUTE_PGM_RSRC2:SCRATCH_EN: 0
; COMPUTE_PGM_RSRC2:USER_SGPR: 6
; COMPUTE_PGM_RSRC2:TRAP_HANDLER: 0
; COMPUTE_PGM_RSRC2:TGID_X_EN: 1
; COMPUTE_PGM_RSRC2:TGID_Y_EN: 0
; COMPUTE_PGM_RSRC2:TGID_Z_EN: 0
; COMPUTE_PGM_RSRC2:TIDIG_COMP_CNT: 0
	.section	.text._Z6kernelI10flag_headsiLj256ELj3ELb1ELj100EEvPKT0_PS1_,"axG",@progbits,_Z6kernelI10flag_headsiLj256ELj3ELb1ELj100EEvPKT0_PS1_,comdat
	.protected	_Z6kernelI10flag_headsiLj256ELj3ELb1ELj100EEvPKT0_PS1_ ; -- Begin function _Z6kernelI10flag_headsiLj256ELj3ELb1ELj100EEvPKT0_PS1_
	.globl	_Z6kernelI10flag_headsiLj256ELj3ELb1ELj100EEvPKT0_PS1_
	.p2align	8
	.type	_Z6kernelI10flag_headsiLj256ELj3ELb1ELj100EEvPKT0_PS1_,@function
_Z6kernelI10flag_headsiLj256ELj3ELb1ELj100EEvPKT0_PS1_: ; @_Z6kernelI10flag_headsiLj256ELj3ELb1ELj100EEvPKT0_PS1_
; %bb.0:
	s_load_dwordx4 s[8:11], s[4:5], 0x0
	s_mul_i32 s0, s6, 0x300
	s_mov_b32 s1, 0
	s_lshl_b64 s[6:7], s[0:1], 2
	v_lshlrev_b32_e32 v4, 2, v0
	s_waitcnt lgkmcnt(0)
	s_add_u32 s0, s8, s6
	s_addc_u32 s1, s9, s7
	global_load_dword v1, v4, s[0:1]
	global_load_dword v2, v4, s[0:1] offset:1024
	global_load_dword v3, v4, s[0:1] offset:2048
	v_cmp_ne_u32_e32 vcc, 0, v0
	v_add_u32_e32 v5, -4, v4
	s_movk_i32 s8, 0x64
	s_branch .LBB7_2
.LBB7_1:                                ;   in Loop: Header=BB7_2 Depth=1
	s_or_b64 exec, exec, s[0:1]
	v_cmp_eq_u32_e64 s[0:1], v2, v3
	v_cmp_eq_u32_e64 s[2:3], v1, v2
	s_waitcnt lgkmcnt(0)
	v_cmp_eq_u32_e64 s[4:5], v6, v1
	s_add_i32 s8, s8, -1
	v_addc_co_u32_e64 v1, s[4:5], 0, v1, s[4:5]
	v_addc_co_u32_e64 v2, s[2:3], 0, v2, s[2:3]
	v_addc_co_u32_e64 v3, s[0:1], 0, v3, s[0:1]
	s_cmp_lg_u32 s8, 0
	s_barrier
	s_cbranch_scc0 .LBB7_4
.LBB7_2:                                ; =>This Inner Loop Header: Depth=1
	v_mov_b32_e32 v6, 0x7b
	s_waitcnt vmcnt(0)
	ds_write_b32 v4, v3
	s_waitcnt lgkmcnt(0)
	s_barrier
	s_and_saveexec_b64 s[0:1], vcc
	s_cbranch_execz .LBB7_1
; %bb.3:                                ;   in Loop: Header=BB7_2 Depth=1
	ds_read_b32 v6, v5
	s_branch .LBB7_1
.LBB7_4:
	s_add_u32 s0, s10, s6
	s_addc_u32 s1, s11, s7
	v_lshlrev_b32_e32 v0, 2, v0
	global_store_dword v0, v1, s[0:1]
	global_store_dword v0, v2, s[0:1] offset:1024
	global_store_dword v0, v3, s[0:1] offset:2048
	s_endpgm
	.section	.rodata,"a",@progbits
	.p2align	6, 0x0
	.amdhsa_kernel _Z6kernelI10flag_headsiLj256ELj3ELb1ELj100EEvPKT0_PS1_
		.amdhsa_group_segment_fixed_size 2048
		.amdhsa_private_segment_fixed_size 0
		.amdhsa_kernarg_size 16
		.amdhsa_user_sgpr_count 6
		.amdhsa_user_sgpr_private_segment_buffer 1
		.amdhsa_user_sgpr_dispatch_ptr 0
		.amdhsa_user_sgpr_queue_ptr 0
		.amdhsa_user_sgpr_kernarg_segment_ptr 1
		.amdhsa_user_sgpr_dispatch_id 0
		.amdhsa_user_sgpr_flat_scratch_init 0
		.amdhsa_user_sgpr_private_segment_size 0
		.amdhsa_uses_dynamic_stack 0
		.amdhsa_system_sgpr_private_segment_wavefront_offset 0
		.amdhsa_system_sgpr_workgroup_id_x 1
		.amdhsa_system_sgpr_workgroup_id_y 0
		.amdhsa_system_sgpr_workgroup_id_z 0
		.amdhsa_system_sgpr_workgroup_info 0
		.amdhsa_system_vgpr_workitem_id 0
		.amdhsa_next_free_vgpr 7
		.amdhsa_next_free_sgpr 12
		.amdhsa_reserve_vcc 1
		.amdhsa_reserve_flat_scratch 0
		.amdhsa_float_round_mode_32 0
		.amdhsa_float_round_mode_16_64 0
		.amdhsa_float_denorm_mode_32 3
		.amdhsa_float_denorm_mode_16_64 3
		.amdhsa_dx10_clamp 1
		.amdhsa_ieee_mode 1
		.amdhsa_fp16_overflow 0
		.amdhsa_exception_fp_ieee_invalid_op 0
		.amdhsa_exception_fp_denorm_src 0
		.amdhsa_exception_fp_ieee_div_zero 0
		.amdhsa_exception_fp_ieee_overflow 0
		.amdhsa_exception_fp_ieee_underflow 0
		.amdhsa_exception_fp_ieee_inexact 0
		.amdhsa_exception_int_div_zero 0
	.end_amdhsa_kernel
	.section	.text._Z6kernelI10flag_headsiLj256ELj3ELb1ELj100EEvPKT0_PS1_,"axG",@progbits,_Z6kernelI10flag_headsiLj256ELj3ELb1ELj100EEvPKT0_PS1_,comdat
.Lfunc_end7:
	.size	_Z6kernelI10flag_headsiLj256ELj3ELb1ELj100EEvPKT0_PS1_, .Lfunc_end7-_Z6kernelI10flag_headsiLj256ELj3ELb1ELj100EEvPKT0_PS1_
                                        ; -- End function
	.set _Z6kernelI10flag_headsiLj256ELj3ELb1ELj100EEvPKT0_PS1_.num_vgpr, 7
	.set _Z6kernelI10flag_headsiLj256ELj3ELb1ELj100EEvPKT0_PS1_.num_agpr, 0
	.set _Z6kernelI10flag_headsiLj256ELj3ELb1ELj100EEvPKT0_PS1_.numbered_sgpr, 12
	.set _Z6kernelI10flag_headsiLj256ELj3ELb1ELj100EEvPKT0_PS1_.num_named_barrier, 0
	.set _Z6kernelI10flag_headsiLj256ELj3ELb1ELj100EEvPKT0_PS1_.private_seg_size, 0
	.set _Z6kernelI10flag_headsiLj256ELj3ELb1ELj100EEvPKT0_PS1_.uses_vcc, 1
	.set _Z6kernelI10flag_headsiLj256ELj3ELb1ELj100EEvPKT0_PS1_.uses_flat_scratch, 0
	.set _Z6kernelI10flag_headsiLj256ELj3ELb1ELj100EEvPKT0_PS1_.has_dyn_sized_stack, 0
	.set _Z6kernelI10flag_headsiLj256ELj3ELb1ELj100EEvPKT0_PS1_.has_recursion, 0
	.set _Z6kernelI10flag_headsiLj256ELj3ELb1ELj100EEvPKT0_PS1_.has_indirect_call, 0
	.section	.AMDGPU.csdata,"",@progbits
; Kernel info:
; codeLenInByte = 240
; TotalNumSgprs: 16
; NumVgprs: 7
; ScratchSize: 0
; MemoryBound: 0
; FloatMode: 240
; IeeeMode: 1
; LDSByteSize: 2048 bytes/workgroup (compile time only)
; SGPRBlocks: 1
; VGPRBlocks: 1
; NumSGPRsForWavesPerEU: 16
; NumVGPRsForWavesPerEU: 7
; Occupancy: 10
; WaveLimiterHint : 1
; COMPUTE_PGM_RSRC2:SCRATCH_EN: 0
; COMPUTE_PGM_RSRC2:USER_SGPR: 6
; COMPUTE_PGM_RSRC2:TRAP_HANDLER: 0
; COMPUTE_PGM_RSRC2:TGID_X_EN: 1
; COMPUTE_PGM_RSRC2:TGID_Y_EN: 0
; COMPUTE_PGM_RSRC2:TGID_Z_EN: 0
; COMPUTE_PGM_RSRC2:TIDIG_COMP_CNT: 0
	.section	.text._Z6kernelI10flag_headsiLj256ELj4ELb1ELj100EEvPKT0_PS1_,"axG",@progbits,_Z6kernelI10flag_headsiLj256ELj4ELb1ELj100EEvPKT0_PS1_,comdat
	.protected	_Z6kernelI10flag_headsiLj256ELj4ELb1ELj100EEvPKT0_PS1_ ; -- Begin function _Z6kernelI10flag_headsiLj256ELj4ELb1ELj100EEvPKT0_PS1_
	.globl	_Z6kernelI10flag_headsiLj256ELj4ELb1ELj100EEvPKT0_PS1_
	.p2align	8
	.type	_Z6kernelI10flag_headsiLj256ELj4ELb1ELj100EEvPKT0_PS1_,@function
_Z6kernelI10flag_headsiLj256ELj4ELb1ELj100EEvPKT0_PS1_: ; @_Z6kernelI10flag_headsiLj256ELj4ELb1ELj100EEvPKT0_PS1_
; %bb.0:
	s_load_dwordx4 s[8:11], s[4:5], 0x0
	s_lshl_b32 s0, s6, 10
	s_mov_b32 s1, 0
	s_lshl_b64 s[12:13], s[0:1], 2
	v_lshlrev_b32_e32 v5, 2, v0
	s_waitcnt lgkmcnt(0)
	s_add_u32 s0, s8, s12
	s_addc_u32 s1, s9, s13
	global_load_dword v1, v5, s[0:1]
	global_load_dword v2, v5, s[0:1] offset:1024
	global_load_dword v3, v5, s[0:1] offset:2048
	;; [unrolled: 1-line block ×3, first 2 shown]
	v_cmp_ne_u32_e32 vcc, 0, v0
	v_add_u32_e32 v6, -4, v5
	s_movk_i32 s8, 0x64
	s_branch .LBB8_2
.LBB8_1:                                ;   in Loop: Header=BB8_2 Depth=1
	s_or_b64 exec, exec, s[0:1]
	v_cmp_eq_u32_e64 s[0:1], v3, v4
	v_cmp_eq_u32_e64 s[2:3], v2, v3
	;; [unrolled: 1-line block ×3, first 2 shown]
	s_waitcnt lgkmcnt(0)
	v_cmp_eq_u32_e64 s[6:7], v7, v1
	s_add_i32 s8, s8, -1
	v_addc_co_u32_e64 v1, s[6:7], 0, v1, s[6:7]
	v_addc_co_u32_e64 v2, s[4:5], 0, v2, s[4:5]
	;; [unrolled: 1-line block ×4, first 2 shown]
	s_cmp_lg_u32 s8, 0
	s_barrier
	s_cbranch_scc0 .LBB8_4
.LBB8_2:                                ; =>This Inner Loop Header: Depth=1
	v_mov_b32_e32 v7, 0x7b
	s_waitcnt vmcnt(0)
	ds_write_b32 v5, v4
	s_waitcnt lgkmcnt(0)
	s_barrier
	s_and_saveexec_b64 s[0:1], vcc
	s_cbranch_execz .LBB8_1
; %bb.3:                                ;   in Loop: Header=BB8_2 Depth=1
	ds_read_b32 v7, v6
	s_branch .LBB8_1
.LBB8_4:
	s_add_u32 s0, s10, s12
	s_addc_u32 s1, s11, s13
	v_lshlrev_b32_e32 v0, 2, v0
	global_store_dword v0, v1, s[0:1]
	global_store_dword v0, v2, s[0:1] offset:1024
	global_store_dword v0, v3, s[0:1] offset:2048
	global_store_dword v0, v4, s[0:1] offset:3072
	s_endpgm
	.section	.rodata,"a",@progbits
	.p2align	6, 0x0
	.amdhsa_kernel _Z6kernelI10flag_headsiLj256ELj4ELb1ELj100EEvPKT0_PS1_
		.amdhsa_group_segment_fixed_size 2048
		.amdhsa_private_segment_fixed_size 0
		.amdhsa_kernarg_size 16
		.amdhsa_user_sgpr_count 6
		.amdhsa_user_sgpr_private_segment_buffer 1
		.amdhsa_user_sgpr_dispatch_ptr 0
		.amdhsa_user_sgpr_queue_ptr 0
		.amdhsa_user_sgpr_kernarg_segment_ptr 1
		.amdhsa_user_sgpr_dispatch_id 0
		.amdhsa_user_sgpr_flat_scratch_init 0
		.amdhsa_user_sgpr_private_segment_size 0
		.amdhsa_uses_dynamic_stack 0
		.amdhsa_system_sgpr_private_segment_wavefront_offset 0
		.amdhsa_system_sgpr_workgroup_id_x 1
		.amdhsa_system_sgpr_workgroup_id_y 0
		.amdhsa_system_sgpr_workgroup_id_z 0
		.amdhsa_system_sgpr_workgroup_info 0
		.amdhsa_system_vgpr_workitem_id 0
		.amdhsa_next_free_vgpr 8
		.amdhsa_next_free_sgpr 14
		.amdhsa_reserve_vcc 1
		.amdhsa_reserve_flat_scratch 0
		.amdhsa_float_round_mode_32 0
		.amdhsa_float_round_mode_16_64 0
		.amdhsa_float_denorm_mode_32 3
		.amdhsa_float_denorm_mode_16_64 3
		.amdhsa_dx10_clamp 1
		.amdhsa_ieee_mode 1
		.amdhsa_fp16_overflow 0
		.amdhsa_exception_fp_ieee_invalid_op 0
		.amdhsa_exception_fp_denorm_src 0
		.amdhsa_exception_fp_ieee_div_zero 0
		.amdhsa_exception_fp_ieee_overflow 0
		.amdhsa_exception_fp_ieee_underflow 0
		.amdhsa_exception_fp_ieee_inexact 0
		.amdhsa_exception_int_div_zero 0
	.end_amdhsa_kernel
	.section	.text._Z6kernelI10flag_headsiLj256ELj4ELb1ELj100EEvPKT0_PS1_,"axG",@progbits,_Z6kernelI10flag_headsiLj256ELj4ELb1ELj100EEvPKT0_PS1_,comdat
.Lfunc_end8:
	.size	_Z6kernelI10flag_headsiLj256ELj4ELb1ELj100EEvPKT0_PS1_, .Lfunc_end8-_Z6kernelI10flag_headsiLj256ELj4ELb1ELj100EEvPKT0_PS1_
                                        ; -- End function
	.set _Z6kernelI10flag_headsiLj256ELj4ELb1ELj100EEvPKT0_PS1_.num_vgpr, 8
	.set _Z6kernelI10flag_headsiLj256ELj4ELb1ELj100EEvPKT0_PS1_.num_agpr, 0
	.set _Z6kernelI10flag_headsiLj256ELj4ELb1ELj100EEvPKT0_PS1_.numbered_sgpr, 14
	.set _Z6kernelI10flag_headsiLj256ELj4ELb1ELj100EEvPKT0_PS1_.num_named_barrier, 0
	.set _Z6kernelI10flag_headsiLj256ELj4ELb1ELj100EEvPKT0_PS1_.private_seg_size, 0
	.set _Z6kernelI10flag_headsiLj256ELj4ELb1ELj100EEvPKT0_PS1_.uses_vcc, 1
	.set _Z6kernelI10flag_headsiLj256ELj4ELb1ELj100EEvPKT0_PS1_.uses_flat_scratch, 0
	.set _Z6kernelI10flag_headsiLj256ELj4ELb1ELj100EEvPKT0_PS1_.has_dyn_sized_stack, 0
	.set _Z6kernelI10flag_headsiLj256ELj4ELb1ELj100EEvPKT0_PS1_.has_recursion, 0
	.set _Z6kernelI10flag_headsiLj256ELj4ELb1ELj100EEvPKT0_PS1_.has_indirect_call, 0
	.section	.AMDGPU.csdata,"",@progbits
; Kernel info:
; codeLenInByte = 268
; TotalNumSgprs: 18
; NumVgprs: 8
; ScratchSize: 0
; MemoryBound: 0
; FloatMode: 240
; IeeeMode: 1
; LDSByteSize: 2048 bytes/workgroup (compile time only)
; SGPRBlocks: 2
; VGPRBlocks: 1
; NumSGPRsForWavesPerEU: 18
; NumVGPRsForWavesPerEU: 8
; Occupancy: 10
; WaveLimiterHint : 1
; COMPUTE_PGM_RSRC2:SCRATCH_EN: 0
; COMPUTE_PGM_RSRC2:USER_SGPR: 6
; COMPUTE_PGM_RSRC2:TRAP_HANDLER: 0
; COMPUTE_PGM_RSRC2:TGID_X_EN: 1
; COMPUTE_PGM_RSRC2:TGID_Y_EN: 0
; COMPUTE_PGM_RSRC2:TGID_Z_EN: 0
; COMPUTE_PGM_RSRC2:TIDIG_COMP_CNT: 0
	.section	.text._Z6kernelI10flag_headsiLj256ELj8ELb1ELj100EEvPKT0_PS1_,"axG",@progbits,_Z6kernelI10flag_headsiLj256ELj8ELb1ELj100EEvPKT0_PS1_,comdat
	.protected	_Z6kernelI10flag_headsiLj256ELj8ELb1ELj100EEvPKT0_PS1_ ; -- Begin function _Z6kernelI10flag_headsiLj256ELj8ELb1ELj100EEvPKT0_PS1_
	.globl	_Z6kernelI10flag_headsiLj256ELj8ELb1ELj100EEvPKT0_PS1_
	.p2align	8
	.type	_Z6kernelI10flag_headsiLj256ELj8ELb1ELj100EEvPKT0_PS1_,@function
_Z6kernelI10flag_headsiLj256ELj8ELb1ELj100EEvPKT0_PS1_: ; @_Z6kernelI10flag_headsiLj256ELj8ELb1ELj100EEvPKT0_PS1_
; %bb.0:
	s_load_dwordx4 s[16:19], s[4:5], 0x0
	s_lshl_b32 s0, s6, 11
	s_mov_b32 s1, 0
	s_lshl_b64 s[20:21], s[0:1], 2
	v_lshlrev_b32_e32 v5, 2, v0
	s_waitcnt lgkmcnt(0)
	s_add_u32 s0, s16, s20
	s_addc_u32 s1, s17, s21
	v_mov_b32_e32 v1, s1
	v_add_co_u32_e32 v2, vcc, s0, v5
	v_addc_co_u32_e32 v1, vcc, 0, v1, vcc
	v_add_co_u32_e32 v10, vcc, 0x1000, v2
	v_addc_co_u32_e32 v11, vcc, 0, v1, vcc
	global_load_dword v6, v5, s[0:1]
	global_load_dword v7, v5, s[0:1] offset:1024
	global_load_dword v8, v5, s[0:1] offset:2048
	;; [unrolled: 1-line block ×3, first 2 shown]
	global_load_dword v1, v[10:11], off
	global_load_dword v2, v[10:11], off offset:1024
	global_load_dword v3, v[10:11], off offset:2048
	;; [unrolled: 1-line block ×3, first 2 shown]
	v_cmp_ne_u32_e32 vcc, 0, v0
	v_add_u32_e32 v10, -4, v5
	s_movk_i32 s16, 0x64
	s_branch .LBB9_2
.LBB9_1:                                ;   in Loop: Header=BB9_2 Depth=1
	s_or_b64 exec, exec, s[0:1]
	v_cmp_eq_u32_e64 s[0:1], v3, v4
	v_cmp_eq_u32_e64 s[2:3], v2, v3
	;; [unrolled: 1-line block ×7, first 2 shown]
	s_waitcnt lgkmcnt(0)
	v_cmp_eq_u32_e64 s[14:15], v11, v6
	s_add_i32 s16, s16, -1
	v_addc_co_u32_e64 v6, s[14:15], 0, v6, s[14:15]
	v_addc_co_u32_e64 v7, s[12:13], 0, v7, s[12:13]
	;; [unrolled: 1-line block ×8, first 2 shown]
	s_cmp_lg_u32 s16, 0
	s_barrier
	s_cbranch_scc0 .LBB9_4
.LBB9_2:                                ; =>This Inner Loop Header: Depth=1
	v_mov_b32_e32 v11, 0x7b
	s_waitcnt vmcnt(0)
	ds_write_b32 v5, v4
	s_waitcnt lgkmcnt(0)
	s_barrier
	s_and_saveexec_b64 s[0:1], vcc
	s_cbranch_execz .LBB9_1
; %bb.3:                                ;   in Loop: Header=BB9_2 Depth=1
	ds_read_b32 v11, v10
	s_branch .LBB9_1
.LBB9_4:
	s_add_u32 s0, s18, s20
	s_addc_u32 s1, s19, s21
	v_lshlrev_b32_e32 v0, 2, v0
	v_mov_b32_e32 v5, s1
	v_add_co_u32_e32 v10, vcc, s0, v0
	v_addc_co_u32_e32 v11, vcc, 0, v5, vcc
	v_add_co_u32_e32 v5, vcc, 0x1000, v10
	global_store_dword v0, v6, s[0:1]
	global_store_dword v0, v7, s[0:1] offset:1024
	global_store_dword v0, v8, s[0:1] offset:2048
	;; [unrolled: 1-line block ×3, first 2 shown]
	v_addc_co_u32_e32 v6, vcc, 0, v11, vcc
	global_store_dword v[5:6], v1, off
	global_store_dword v[5:6], v2, off offset:1024
	global_store_dword v[5:6], v3, off offset:2048
	;; [unrolled: 1-line block ×3, first 2 shown]
	s_endpgm
	.section	.rodata,"a",@progbits
	.p2align	6, 0x0
	.amdhsa_kernel _Z6kernelI10flag_headsiLj256ELj8ELb1ELj100EEvPKT0_PS1_
		.amdhsa_group_segment_fixed_size 2048
		.amdhsa_private_segment_fixed_size 0
		.amdhsa_kernarg_size 16
		.amdhsa_user_sgpr_count 6
		.amdhsa_user_sgpr_private_segment_buffer 1
		.amdhsa_user_sgpr_dispatch_ptr 0
		.amdhsa_user_sgpr_queue_ptr 0
		.amdhsa_user_sgpr_kernarg_segment_ptr 1
		.amdhsa_user_sgpr_dispatch_id 0
		.amdhsa_user_sgpr_flat_scratch_init 0
		.amdhsa_user_sgpr_private_segment_size 0
		.amdhsa_uses_dynamic_stack 0
		.amdhsa_system_sgpr_private_segment_wavefront_offset 0
		.amdhsa_system_sgpr_workgroup_id_x 1
		.amdhsa_system_sgpr_workgroup_id_y 0
		.amdhsa_system_sgpr_workgroup_id_z 0
		.amdhsa_system_sgpr_workgroup_info 0
		.amdhsa_system_vgpr_workitem_id 0
		.amdhsa_next_free_vgpr 12
		.amdhsa_next_free_sgpr 22
		.amdhsa_reserve_vcc 1
		.amdhsa_reserve_flat_scratch 0
		.amdhsa_float_round_mode_32 0
		.amdhsa_float_round_mode_16_64 0
		.amdhsa_float_denorm_mode_32 3
		.amdhsa_float_denorm_mode_16_64 3
		.amdhsa_dx10_clamp 1
		.amdhsa_ieee_mode 1
		.amdhsa_fp16_overflow 0
		.amdhsa_exception_fp_ieee_invalid_op 0
		.amdhsa_exception_fp_denorm_src 0
		.amdhsa_exception_fp_ieee_div_zero 0
		.amdhsa_exception_fp_ieee_overflow 0
		.amdhsa_exception_fp_ieee_underflow 0
		.amdhsa_exception_fp_ieee_inexact 0
		.amdhsa_exception_int_div_zero 0
	.end_amdhsa_kernel
	.section	.text._Z6kernelI10flag_headsiLj256ELj8ELb1ELj100EEvPKT0_PS1_,"axG",@progbits,_Z6kernelI10flag_headsiLj256ELj8ELb1ELj100EEvPKT0_PS1_,comdat
.Lfunc_end9:
	.size	_Z6kernelI10flag_headsiLj256ELj8ELb1ELj100EEvPKT0_PS1_, .Lfunc_end9-_Z6kernelI10flag_headsiLj256ELj8ELb1ELj100EEvPKT0_PS1_
                                        ; -- End function
	.set _Z6kernelI10flag_headsiLj256ELj8ELb1ELj100EEvPKT0_PS1_.num_vgpr, 12
	.set _Z6kernelI10flag_headsiLj256ELj8ELb1ELj100EEvPKT0_PS1_.num_agpr, 0
	.set _Z6kernelI10flag_headsiLj256ELj8ELb1ELj100EEvPKT0_PS1_.numbered_sgpr, 22
	.set _Z6kernelI10flag_headsiLj256ELj8ELb1ELj100EEvPKT0_PS1_.num_named_barrier, 0
	.set _Z6kernelI10flag_headsiLj256ELj8ELb1ELj100EEvPKT0_PS1_.private_seg_size, 0
	.set _Z6kernelI10flag_headsiLj256ELj8ELb1ELj100EEvPKT0_PS1_.uses_vcc, 1
	.set _Z6kernelI10flag_headsiLj256ELj8ELb1ELj100EEvPKT0_PS1_.uses_flat_scratch, 0
	.set _Z6kernelI10flag_headsiLj256ELj8ELb1ELj100EEvPKT0_PS1_.has_dyn_sized_stack, 0
	.set _Z6kernelI10flag_headsiLj256ELj8ELb1ELj100EEvPKT0_PS1_.has_recursion, 0
	.set _Z6kernelI10flag_headsiLj256ELj8ELb1ELj100EEvPKT0_PS1_.has_indirect_call, 0
	.section	.AMDGPU.csdata,"",@progbits
; Kernel info:
; codeLenInByte = 444
; TotalNumSgprs: 26
; NumVgprs: 12
; ScratchSize: 0
; MemoryBound: 0
; FloatMode: 240
; IeeeMode: 1
; LDSByteSize: 2048 bytes/workgroup (compile time only)
; SGPRBlocks: 3
; VGPRBlocks: 2
; NumSGPRsForWavesPerEU: 26
; NumVGPRsForWavesPerEU: 12
; Occupancy: 10
; WaveLimiterHint : 1
; COMPUTE_PGM_RSRC2:SCRATCH_EN: 0
; COMPUTE_PGM_RSRC2:USER_SGPR: 6
; COMPUTE_PGM_RSRC2:TRAP_HANDLER: 0
; COMPUTE_PGM_RSRC2:TGID_X_EN: 1
; COMPUTE_PGM_RSRC2:TGID_Y_EN: 0
; COMPUTE_PGM_RSRC2:TGID_Z_EN: 0
; COMPUTE_PGM_RSRC2:TIDIG_COMP_CNT: 0
	.section	.text._Z6kernelI10flag_headsaLj256ELj1ELb0ELj100EEvPKT0_PS1_,"axG",@progbits,_Z6kernelI10flag_headsaLj256ELj1ELb0ELj100EEvPKT0_PS1_,comdat
	.protected	_Z6kernelI10flag_headsaLj256ELj1ELb0ELj100EEvPKT0_PS1_ ; -- Begin function _Z6kernelI10flag_headsaLj256ELj1ELb0ELj100EEvPKT0_PS1_
	.globl	_Z6kernelI10flag_headsaLj256ELj1ELb0ELj100EEvPKT0_PS1_
	.p2align	8
	.type	_Z6kernelI10flag_headsaLj256ELj1ELb0ELj100EEvPKT0_PS1_,@function
_Z6kernelI10flag_headsaLj256ELj1ELb0ELj100EEvPKT0_PS1_: ; @_Z6kernelI10flag_headsaLj256ELj1ELb0ELj100EEvPKT0_PS1_
; %bb.0:
	s_load_dwordx4 s[0:3], s[4:5], 0x0
	s_lshl_b32 s4, s6, 8
	v_cmp_ne_u32_e32 vcc, 0, v0
	v_add_u32_e32 v2, -1, v0
	s_movk_i32 s5, 0x64
	s_waitcnt lgkmcnt(0)
	s_add_u32 s0, s0, s4
	s_addc_u32 s1, s1, 0
	global_load_ubyte v1, v0, s[0:1]
	s_branch .LBB10_2
.LBB10_1:                               ;   in Loop: Header=BB10_2 Depth=1
	s_or_b64 exec, exec, s[0:1]
	s_add_i32 s5, s5, -1
	v_add_u16_e32 v1, v3, v1
	s_cmp_lg_u32 s5, 0
	s_barrier
	s_cbranch_scc0 .LBB10_4
.LBB10_2:                               ; =>This Inner Loop Header: Depth=1
	v_mov_b32_e32 v3, 1
	s_waitcnt vmcnt(0)
	ds_write_b8 v0, v1
	s_waitcnt lgkmcnt(0)
	s_barrier
	s_and_saveexec_b64 s[0:1], vcc
	s_cbranch_execz .LBB10_1
; %bb.3:                                ;   in Loop: Header=BB10_2 Depth=1
	ds_read_u8 v3, v2
	s_waitcnt lgkmcnt(0)
	v_cmp_eq_u16_sdwa s[6:7], v3, v1 src0_sel:DWORD src1_sel:BYTE_0
	v_cndmask_b32_e64 v3, 0, 1, s[6:7]
	s_branch .LBB10_1
.LBB10_4:
	s_add_u32 s0, s2, s4
	s_addc_u32 s1, s3, 0
	v_mov_b32_e32 v3, s1
	v_add_co_u32_e32 v2, vcc, s0, v0
	v_addc_co_u32_e32 v3, vcc, 0, v3, vcc
	global_store_byte v[2:3], v1, off
	s_endpgm
	.section	.rodata,"a",@progbits
	.p2align	6, 0x0
	.amdhsa_kernel _Z6kernelI10flag_headsaLj256ELj1ELb0ELj100EEvPKT0_PS1_
		.amdhsa_group_segment_fixed_size 512
		.amdhsa_private_segment_fixed_size 0
		.amdhsa_kernarg_size 16
		.amdhsa_user_sgpr_count 6
		.amdhsa_user_sgpr_private_segment_buffer 1
		.amdhsa_user_sgpr_dispatch_ptr 0
		.amdhsa_user_sgpr_queue_ptr 0
		.amdhsa_user_sgpr_kernarg_segment_ptr 1
		.amdhsa_user_sgpr_dispatch_id 0
		.amdhsa_user_sgpr_flat_scratch_init 0
		.amdhsa_user_sgpr_private_segment_size 0
		.amdhsa_uses_dynamic_stack 0
		.amdhsa_system_sgpr_private_segment_wavefront_offset 0
		.amdhsa_system_sgpr_workgroup_id_x 1
		.amdhsa_system_sgpr_workgroup_id_y 0
		.amdhsa_system_sgpr_workgroup_id_z 0
		.amdhsa_system_sgpr_workgroup_info 0
		.amdhsa_system_vgpr_workitem_id 0
		.amdhsa_next_free_vgpr 4
		.amdhsa_next_free_sgpr 8
		.amdhsa_reserve_vcc 1
		.amdhsa_reserve_flat_scratch 0
		.amdhsa_float_round_mode_32 0
		.amdhsa_float_round_mode_16_64 0
		.amdhsa_float_denorm_mode_32 3
		.amdhsa_float_denorm_mode_16_64 3
		.amdhsa_dx10_clamp 1
		.amdhsa_ieee_mode 1
		.amdhsa_fp16_overflow 0
		.amdhsa_exception_fp_ieee_invalid_op 0
		.amdhsa_exception_fp_denorm_src 0
		.amdhsa_exception_fp_ieee_div_zero 0
		.amdhsa_exception_fp_ieee_overflow 0
		.amdhsa_exception_fp_ieee_underflow 0
		.amdhsa_exception_fp_ieee_inexact 0
		.amdhsa_exception_int_div_zero 0
	.end_amdhsa_kernel
	.section	.text._Z6kernelI10flag_headsaLj256ELj1ELb0ELj100EEvPKT0_PS1_,"axG",@progbits,_Z6kernelI10flag_headsaLj256ELj1ELb0ELj100EEvPKT0_PS1_,comdat
.Lfunc_end10:
	.size	_Z6kernelI10flag_headsaLj256ELj1ELb0ELj100EEvPKT0_PS1_, .Lfunc_end10-_Z6kernelI10flag_headsaLj256ELj1ELb0ELj100EEvPKT0_PS1_
                                        ; -- End function
	.set _Z6kernelI10flag_headsaLj256ELj1ELb0ELj100EEvPKT0_PS1_.num_vgpr, 4
	.set _Z6kernelI10flag_headsaLj256ELj1ELb0ELj100EEvPKT0_PS1_.num_agpr, 0
	.set _Z6kernelI10flag_headsaLj256ELj1ELb0ELj100EEvPKT0_PS1_.numbered_sgpr, 8
	.set _Z6kernelI10flag_headsaLj256ELj1ELb0ELj100EEvPKT0_PS1_.num_named_barrier, 0
	.set _Z6kernelI10flag_headsaLj256ELj1ELb0ELj100EEvPKT0_PS1_.private_seg_size, 0
	.set _Z6kernelI10flag_headsaLj256ELj1ELb0ELj100EEvPKT0_PS1_.uses_vcc, 1
	.set _Z6kernelI10flag_headsaLj256ELj1ELb0ELj100EEvPKT0_PS1_.uses_flat_scratch, 0
	.set _Z6kernelI10flag_headsaLj256ELj1ELb0ELj100EEvPKT0_PS1_.has_dyn_sized_stack, 0
	.set _Z6kernelI10flag_headsaLj256ELj1ELb0ELj100EEvPKT0_PS1_.has_recursion, 0
	.set _Z6kernelI10flag_headsaLj256ELj1ELb0ELj100EEvPKT0_PS1_.has_indirect_call, 0
	.section	.AMDGPU.csdata,"",@progbits
; Kernel info:
; codeLenInByte = 168
; TotalNumSgprs: 12
; NumVgprs: 4
; ScratchSize: 0
; MemoryBound: 0
; FloatMode: 240
; IeeeMode: 1
; LDSByteSize: 512 bytes/workgroup (compile time only)
; SGPRBlocks: 1
; VGPRBlocks: 0
; NumSGPRsForWavesPerEU: 12
; NumVGPRsForWavesPerEU: 4
; Occupancy: 10
; WaveLimiterHint : 0
; COMPUTE_PGM_RSRC2:SCRATCH_EN: 0
; COMPUTE_PGM_RSRC2:USER_SGPR: 6
; COMPUTE_PGM_RSRC2:TRAP_HANDLER: 0
; COMPUTE_PGM_RSRC2:TGID_X_EN: 1
; COMPUTE_PGM_RSRC2:TGID_Y_EN: 0
; COMPUTE_PGM_RSRC2:TGID_Z_EN: 0
; COMPUTE_PGM_RSRC2:TIDIG_COMP_CNT: 0
	.section	.text._Z6kernelI10flag_headsaLj256ELj2ELb0ELj100EEvPKT0_PS1_,"axG",@progbits,_Z6kernelI10flag_headsaLj256ELj2ELb0ELj100EEvPKT0_PS1_,comdat
	.protected	_Z6kernelI10flag_headsaLj256ELj2ELb0ELj100EEvPKT0_PS1_ ; -- Begin function _Z6kernelI10flag_headsaLj256ELj2ELb0ELj100EEvPKT0_PS1_
	.globl	_Z6kernelI10flag_headsaLj256ELj2ELb0ELj100EEvPKT0_PS1_
	.p2align	8
	.type	_Z6kernelI10flag_headsaLj256ELj2ELb0ELj100EEvPKT0_PS1_,@function
_Z6kernelI10flag_headsaLj256ELj2ELb0ELj100EEvPKT0_PS1_: ; @_Z6kernelI10flag_headsaLj256ELj2ELb0ELj100EEvPKT0_PS1_
; %bb.0:
	s_load_dwordx4 s[0:3], s[4:5], 0x0
	s_lshl_b32 s6, s6, 9
	v_cmp_ne_u32_e32 vcc, 0, v0
	v_add_u32_e32 v2, -1, v0
	s_movk_i32 s7, 0x64
	s_waitcnt lgkmcnt(0)
	s_add_u32 s0, s0, s6
	s_addc_u32 s1, s1, 0
	global_load_ubyte v1, v0, s[0:1] offset:256
	global_load_ubyte v3, v0, s[0:1]
	s_mov_b32 s0, 0xc0c0004
	s_waitcnt vmcnt(0)
	v_perm_b32 v1, v3, v1, s0
	s_branch .LBB11_2
.LBB11_1:                               ;   in Loop: Header=BB11_2 Depth=1
	s_or_b64 exec, exec, s[4:5]
	v_cndmask_b32_e64 v5, 0, 1, s[0:1]
	v_add_u16_e32 v1, v4, v1
	v_add_u16_sdwa v3, v5, v3 dst_sel:BYTE_1 dst_unused:UNUSED_PAD src0_sel:DWORD src1_sel:DWORD
	v_or_b32_sdwa v1, v1, v3 dst_sel:DWORD dst_unused:UNUSED_PAD src0_sel:BYTE_0 src1_sel:DWORD
	s_add_i32 s7, s7, -1
	v_and_b32_e32 v1, 0xffff, v1
	s_cmp_lg_u32 s7, 0
	s_barrier
	s_cbranch_scc0 .LBB11_4
.LBB11_2:                               ; =>This Inner Loop Header: Depth=1
	v_lshrrev_b16_e32 v3, 8, v1
	v_cmp_eq_u16_sdwa s[0:1], v1, v3 src0_sel:BYTE_0 src1_sel:DWORD
	v_mov_b32_e32 v4, 1
	ds_write_b8 v0, v3
	s_waitcnt lgkmcnt(0)
	s_barrier
	s_and_saveexec_b64 s[4:5], vcc
	s_cbranch_execz .LBB11_1
; %bb.3:                                ;   in Loop: Header=BB11_2 Depth=1
	ds_read_u8 v4, v2
	s_waitcnt lgkmcnt(0)
	v_cmp_eq_u16_sdwa s[8:9], v4, v1 src0_sel:DWORD src1_sel:BYTE_0
	v_cndmask_b32_e64 v4, 0, 1, s[8:9]
	s_branch .LBB11_1
.LBB11_4:
	s_add_u32 s0, s2, s6
	s_addc_u32 s1, s3, 0
	v_mov_b32_e32 v3, s1
	v_add_co_u32_e32 v2, vcc, s0, v0
	v_addc_co_u32_e32 v3, vcc, 0, v3, vcc
	v_lshrrev_b16_e32 v0, 8, v1
	global_store_byte v[2:3], v1, off
	global_store_byte v[2:3], v0, off offset:256
	s_endpgm
	.section	.rodata,"a",@progbits
	.p2align	6, 0x0
	.amdhsa_kernel _Z6kernelI10flag_headsaLj256ELj2ELb0ELj100EEvPKT0_PS1_
		.amdhsa_group_segment_fixed_size 512
		.amdhsa_private_segment_fixed_size 0
		.amdhsa_kernarg_size 16
		.amdhsa_user_sgpr_count 6
		.amdhsa_user_sgpr_private_segment_buffer 1
		.amdhsa_user_sgpr_dispatch_ptr 0
		.amdhsa_user_sgpr_queue_ptr 0
		.amdhsa_user_sgpr_kernarg_segment_ptr 1
		.amdhsa_user_sgpr_dispatch_id 0
		.amdhsa_user_sgpr_flat_scratch_init 0
		.amdhsa_user_sgpr_private_segment_size 0
		.amdhsa_uses_dynamic_stack 0
		.amdhsa_system_sgpr_private_segment_wavefront_offset 0
		.amdhsa_system_sgpr_workgroup_id_x 1
		.amdhsa_system_sgpr_workgroup_id_y 0
		.amdhsa_system_sgpr_workgroup_id_z 0
		.amdhsa_system_sgpr_workgroup_info 0
		.amdhsa_system_vgpr_workitem_id 0
		.amdhsa_next_free_vgpr 6
		.amdhsa_next_free_sgpr 10
		.amdhsa_reserve_vcc 1
		.amdhsa_reserve_flat_scratch 0
		.amdhsa_float_round_mode_32 0
		.amdhsa_float_round_mode_16_64 0
		.amdhsa_float_denorm_mode_32 3
		.amdhsa_float_denorm_mode_16_64 3
		.amdhsa_dx10_clamp 1
		.amdhsa_ieee_mode 1
		.amdhsa_fp16_overflow 0
		.amdhsa_exception_fp_ieee_invalid_op 0
		.amdhsa_exception_fp_denorm_src 0
		.amdhsa_exception_fp_ieee_div_zero 0
		.amdhsa_exception_fp_ieee_overflow 0
		.amdhsa_exception_fp_ieee_underflow 0
		.amdhsa_exception_fp_ieee_inexact 0
		.amdhsa_exception_int_div_zero 0
	.end_amdhsa_kernel
	.section	.text._Z6kernelI10flag_headsaLj256ELj2ELb0ELj100EEvPKT0_PS1_,"axG",@progbits,_Z6kernelI10flag_headsaLj256ELj2ELb0ELj100EEvPKT0_PS1_,comdat
.Lfunc_end11:
	.size	_Z6kernelI10flag_headsaLj256ELj2ELb0ELj100EEvPKT0_PS1_, .Lfunc_end11-_Z6kernelI10flag_headsaLj256ELj2ELb0ELj100EEvPKT0_PS1_
                                        ; -- End function
	.set _Z6kernelI10flag_headsaLj256ELj2ELb0ELj100EEvPKT0_PS1_.num_vgpr, 6
	.set _Z6kernelI10flag_headsaLj256ELj2ELb0ELj100EEvPKT0_PS1_.num_agpr, 0
	.set _Z6kernelI10flag_headsaLj256ELj2ELb0ELj100EEvPKT0_PS1_.numbered_sgpr, 10
	.set _Z6kernelI10flag_headsaLj256ELj2ELb0ELj100EEvPKT0_PS1_.num_named_barrier, 0
	.set _Z6kernelI10flag_headsaLj256ELj2ELb0ELj100EEvPKT0_PS1_.private_seg_size, 0
	.set _Z6kernelI10flag_headsaLj256ELj2ELb0ELj100EEvPKT0_PS1_.uses_vcc, 1
	.set _Z6kernelI10flag_headsaLj256ELj2ELb0ELj100EEvPKT0_PS1_.uses_flat_scratch, 0
	.set _Z6kernelI10flag_headsaLj256ELj2ELb0ELj100EEvPKT0_PS1_.has_dyn_sized_stack, 0
	.set _Z6kernelI10flag_headsaLj256ELj2ELb0ELj100EEvPKT0_PS1_.has_recursion, 0
	.set _Z6kernelI10flag_headsaLj256ELj2ELb0ELj100EEvPKT0_PS1_.has_indirect_call, 0
	.section	.AMDGPU.csdata,"",@progbits
; Kernel info:
; codeLenInByte = 248
; TotalNumSgprs: 14
; NumVgprs: 6
; ScratchSize: 0
; MemoryBound: 0
; FloatMode: 240
; IeeeMode: 1
; LDSByteSize: 512 bytes/workgroup (compile time only)
; SGPRBlocks: 1
; VGPRBlocks: 1
; NumSGPRsForWavesPerEU: 14
; NumVGPRsForWavesPerEU: 6
; Occupancy: 10
; WaveLimiterHint : 1
; COMPUTE_PGM_RSRC2:SCRATCH_EN: 0
; COMPUTE_PGM_RSRC2:USER_SGPR: 6
; COMPUTE_PGM_RSRC2:TRAP_HANDLER: 0
; COMPUTE_PGM_RSRC2:TGID_X_EN: 1
; COMPUTE_PGM_RSRC2:TGID_Y_EN: 0
; COMPUTE_PGM_RSRC2:TGID_Z_EN: 0
; COMPUTE_PGM_RSRC2:TIDIG_COMP_CNT: 0
	.section	.text._Z6kernelI10flag_headsaLj256ELj3ELb0ELj100EEvPKT0_PS1_,"axG",@progbits,_Z6kernelI10flag_headsaLj256ELj3ELb0ELj100EEvPKT0_PS1_,comdat
	.protected	_Z6kernelI10flag_headsaLj256ELj3ELb0ELj100EEvPKT0_PS1_ ; -- Begin function _Z6kernelI10flag_headsaLj256ELj3ELb0ELj100EEvPKT0_PS1_
	.globl	_Z6kernelI10flag_headsaLj256ELj3ELb0ELj100EEvPKT0_PS1_
	.p2align	8
	.type	_Z6kernelI10flag_headsaLj256ELj3ELb0ELj100EEvPKT0_PS1_,@function
_Z6kernelI10flag_headsaLj256ELj3ELb0ELj100EEvPKT0_PS1_: ; @_Z6kernelI10flag_headsaLj256ELj3ELb0ELj100EEvPKT0_PS1_
; %bb.0:
	s_load_dwordx4 s[0:3], s[4:5], 0x0
	s_mul_i32 s8, s6, 0x300
	s_movk_i32 s9, 0x64
	v_cmp_ne_u32_e32 vcc, 0, v0
	v_add_u32_e32 v2, -1, v0
	s_waitcnt lgkmcnt(0)
	s_add_u32 s0, s0, s8
	s_addc_u32 s1, s1, 0
	global_load_ubyte v1, v0, s[0:1] offset:256
	global_load_ubyte v3, v0, s[0:1] offset:512
	global_load_ubyte v4, v0, s[0:1]
	s_mov_b32 s0, 0xc0c0004
	s_mov_b32 s10, 0xc0c0104
	s_waitcnt vmcnt(0)
	v_perm_b32 v1, v4, v1, s0
	v_lshl_or_b32 v1, v3, 16, v1
	s_branch .LBB12_2
.LBB12_1:                               ;   in Loop: Header=BB12_2 Depth=1
	s_or_b64 exec, exec, s[6:7]
	v_cndmask_b32_e64 v5, 0, 1, s[0:1]
	v_cndmask_b32_e64 v6, 0, 1, s[4:5]
	v_add_u16_e32 v3, v5, v3
	v_and_b32_e32 v5, 0xff, v3
	v_add_u16_sdwa v6, v6, v1 dst_sel:BYTE_1 dst_unused:UNUSED_PAD src0_sel:DWORD src1_sel:BYTE_1
	v_add_u16_e32 v1, v4, v1
	v_perm_b32 v1, v1, v6, s10
	v_lshlrev_b32_e32 v4, 16, v5
	s_add_i32 s9, s9, -1
	v_or_b32_e32 v1, v1, v4
	s_cmp_lg_u32 s9, 0
	s_barrier
	s_cbranch_scc0 .LBB12_4
.LBB12_2:                               ; =>This Inner Loop Header: Depth=1
	v_lshrrev_b32_e32 v3, 16, v1
	v_lshrrev_b32_e32 v4, 8, v1
	v_cmp_eq_u16_sdwa s[0:1], v4, v3 src0_sel:BYTE_0 src1_sel:BYTE_0
	v_cmp_eq_u16_sdwa s[4:5], v1, v4 src0_sel:BYTE_0 src1_sel:BYTE_0
	v_mov_b32_e32 v4, 1
	ds_write_b8 v0, v3
	s_waitcnt lgkmcnt(0)
	s_barrier
	s_and_saveexec_b64 s[6:7], vcc
	s_cbranch_execz .LBB12_1
; %bb.3:                                ;   in Loop: Header=BB12_2 Depth=1
	ds_read_u8 v4, v2
	s_waitcnt lgkmcnt(0)
	v_cmp_eq_u16_sdwa s[12:13], v4, v1 src0_sel:DWORD src1_sel:BYTE_0
	v_cndmask_b32_e64 v4, 0, 1, s[12:13]
	s_branch .LBB12_1
.LBB12_4:
	s_add_u32 s0, s2, s8
	s_addc_u32 s1, s3, 0
	v_mov_b32_e32 v2, s1
	v_add_co_u32_e32 v4, vcc, s0, v0
	v_addc_co_u32_e32 v5, vcc, 0, v2, vcc
	v_lshrrev_b32_e32 v0, 8, v1
	global_store_byte v[4:5], v1, off
	global_store_byte v[4:5], v0, off offset:256
	global_store_byte v[4:5], v3, off offset:512
	s_endpgm
	.section	.rodata,"a",@progbits
	.p2align	6, 0x0
	.amdhsa_kernel _Z6kernelI10flag_headsaLj256ELj3ELb0ELj100EEvPKT0_PS1_
		.amdhsa_group_segment_fixed_size 512
		.amdhsa_private_segment_fixed_size 0
		.amdhsa_kernarg_size 16
		.amdhsa_user_sgpr_count 6
		.amdhsa_user_sgpr_private_segment_buffer 1
		.amdhsa_user_sgpr_dispatch_ptr 0
		.amdhsa_user_sgpr_queue_ptr 0
		.amdhsa_user_sgpr_kernarg_segment_ptr 1
		.amdhsa_user_sgpr_dispatch_id 0
		.amdhsa_user_sgpr_flat_scratch_init 0
		.amdhsa_user_sgpr_private_segment_size 0
		.amdhsa_uses_dynamic_stack 0
		.amdhsa_system_sgpr_private_segment_wavefront_offset 0
		.amdhsa_system_sgpr_workgroup_id_x 1
		.amdhsa_system_sgpr_workgroup_id_y 0
		.amdhsa_system_sgpr_workgroup_id_z 0
		.amdhsa_system_sgpr_workgroup_info 0
		.amdhsa_system_vgpr_workitem_id 0
		.amdhsa_next_free_vgpr 7
		.amdhsa_next_free_sgpr 14
		.amdhsa_reserve_vcc 1
		.amdhsa_reserve_flat_scratch 0
		.amdhsa_float_round_mode_32 0
		.amdhsa_float_round_mode_16_64 0
		.amdhsa_float_denorm_mode_32 3
		.amdhsa_float_denorm_mode_16_64 3
		.amdhsa_dx10_clamp 1
		.amdhsa_ieee_mode 1
		.amdhsa_fp16_overflow 0
		.amdhsa_exception_fp_ieee_invalid_op 0
		.amdhsa_exception_fp_denorm_src 0
		.amdhsa_exception_fp_ieee_div_zero 0
		.amdhsa_exception_fp_ieee_overflow 0
		.amdhsa_exception_fp_ieee_underflow 0
		.amdhsa_exception_fp_ieee_inexact 0
		.amdhsa_exception_int_div_zero 0
	.end_amdhsa_kernel
	.section	.text._Z6kernelI10flag_headsaLj256ELj3ELb0ELj100EEvPKT0_PS1_,"axG",@progbits,_Z6kernelI10flag_headsaLj256ELj3ELb0ELj100EEvPKT0_PS1_,comdat
.Lfunc_end12:
	.size	_Z6kernelI10flag_headsaLj256ELj3ELb0ELj100EEvPKT0_PS1_, .Lfunc_end12-_Z6kernelI10flag_headsaLj256ELj3ELb0ELj100EEvPKT0_PS1_
                                        ; -- End function
	.set _Z6kernelI10flag_headsaLj256ELj3ELb0ELj100EEvPKT0_PS1_.num_vgpr, 7
	.set _Z6kernelI10flag_headsaLj256ELj3ELb0ELj100EEvPKT0_PS1_.num_agpr, 0
	.set _Z6kernelI10flag_headsaLj256ELj3ELb0ELj100EEvPKT0_PS1_.numbered_sgpr, 14
	.set _Z6kernelI10flag_headsaLj256ELj3ELb0ELj100EEvPKT0_PS1_.num_named_barrier, 0
	.set _Z6kernelI10flag_headsaLj256ELj3ELb0ELj100EEvPKT0_PS1_.private_seg_size, 0
	.set _Z6kernelI10flag_headsaLj256ELj3ELb0ELj100EEvPKT0_PS1_.uses_vcc, 1
	.set _Z6kernelI10flag_headsaLj256ELj3ELb0ELj100EEvPKT0_PS1_.uses_flat_scratch, 0
	.set _Z6kernelI10flag_headsaLj256ELj3ELb0ELj100EEvPKT0_PS1_.has_dyn_sized_stack, 0
	.set _Z6kernelI10flag_headsaLj256ELj3ELb0ELj100EEvPKT0_PS1_.has_recursion, 0
	.set _Z6kernelI10flag_headsaLj256ELj3ELb0ELj100EEvPKT0_PS1_.has_indirect_call, 0
	.section	.AMDGPU.csdata,"",@progbits
; Kernel info:
; codeLenInByte = 316
; TotalNumSgprs: 18
; NumVgprs: 7
; ScratchSize: 0
; MemoryBound: 0
; FloatMode: 240
; IeeeMode: 1
; LDSByteSize: 512 bytes/workgroup (compile time only)
; SGPRBlocks: 2
; VGPRBlocks: 1
; NumSGPRsForWavesPerEU: 18
; NumVGPRsForWavesPerEU: 7
; Occupancy: 10
; WaveLimiterHint : 1
; COMPUTE_PGM_RSRC2:SCRATCH_EN: 0
; COMPUTE_PGM_RSRC2:USER_SGPR: 6
; COMPUTE_PGM_RSRC2:TRAP_HANDLER: 0
; COMPUTE_PGM_RSRC2:TGID_X_EN: 1
; COMPUTE_PGM_RSRC2:TGID_Y_EN: 0
; COMPUTE_PGM_RSRC2:TGID_Z_EN: 0
; COMPUTE_PGM_RSRC2:TIDIG_COMP_CNT: 0
	.section	.text._Z6kernelI10flag_headsaLj256ELj4ELb0ELj100EEvPKT0_PS1_,"axG",@progbits,_Z6kernelI10flag_headsaLj256ELj4ELb0ELj100EEvPKT0_PS1_,comdat
	.protected	_Z6kernelI10flag_headsaLj256ELj4ELb0ELj100EEvPKT0_PS1_ ; -- Begin function _Z6kernelI10flag_headsaLj256ELj4ELb0ELj100EEvPKT0_PS1_
	.globl	_Z6kernelI10flag_headsaLj256ELj4ELb0ELj100EEvPKT0_PS1_
	.p2align	8
	.type	_Z6kernelI10flag_headsaLj256ELj4ELb0ELj100EEvPKT0_PS1_,@function
_Z6kernelI10flag_headsaLj256ELj4ELb0ELj100EEvPKT0_PS1_: ; @_Z6kernelI10flag_headsaLj256ELj4ELb0ELj100EEvPKT0_PS1_
; %bb.0:
	s_load_dwordx4 s[0:3], s[4:5], 0x0
	s_lshl_b32 s10, s6, 10
	s_movk_i32 s11, 0x64
	v_cmp_ne_u32_e32 vcc, 0, v0
	v_add_u32_e32 v2, -1, v0
	s_waitcnt lgkmcnt(0)
	s_add_u32 s0, s0, s10
	s_addc_u32 s1, s1, 0
	global_load_ubyte v1, v0, s[0:1] offset:256
	global_load_ubyte v3, v0, s[0:1] offset:512
	global_load_ubyte v4, v0, s[0:1]
	global_load_ubyte v5, v0, s[0:1] offset:768
	s_mov_b32 s0, 0xc0c0004
	s_movk_i32 s12, 0xff
	s_waitcnt vmcnt(1)
	v_perm_b32 v1, v4, v1, s0
	s_waitcnt vmcnt(0)
	v_perm_b32 v3, v3, v5, s0
	v_lshl_or_b32 v1, v3, 16, v1
	s_branch .LBB13_2
.LBB13_1:                               ;   in Loop: Header=BB13_2 Depth=1
	s_or_b64 exec, exec, s[8:9]
	v_cndmask_b32_e64 v5, 0, 1, s[0:1]
	v_cndmask_b32_e64 v6, 0, 1, s[4:5]
	;; [unrolled: 1-line block ×3, first 2 shown]
	v_add_u16_e32 v4, v4, v1
	v_add_u16_sdwa v7, v7, v1 dst_sel:BYTE_1 dst_unused:UNUSED_PAD src0_sel:DWORD src1_sel:BYTE_1
	v_add_u16_sdwa v1, v6, v1 dst_sel:DWORD dst_unused:UNUSED_PAD src0_sel:DWORD src1_sel:WORD_1
	v_add_u16_sdwa v3, v5, v3 dst_sel:BYTE_1 dst_unused:UNUSED_PAD src0_sel:DWORD src1_sel:DWORD
	v_or_b32_sdwa v4, v4, v7 dst_sel:DWORD dst_unused:UNUSED_PAD src0_sel:BYTE_0 src1_sel:DWORD
	v_or_b32_sdwa v1, v1, v3 dst_sel:WORD_1 dst_unused:UNUSED_PAD src0_sel:BYTE_0 src1_sel:DWORD
	s_add_i32 s11, s11, -1
	v_or_b32_sdwa v1, v4, v1 dst_sel:DWORD dst_unused:UNUSED_PAD src0_sel:WORD_0 src1_sel:DWORD
	s_cmp_lg_u32 s11, 0
	s_barrier
	s_cbranch_scc0 .LBB13_4
.LBB13_2:                               ; =>This Inner Loop Header: Depth=1
	v_lshrrev_b32_e32 v3, 24, v1
	v_and_b32_sdwa v4, v1, s12 dst_sel:DWORD dst_unused:UNUSED_PAD src0_sel:WORD_1 src1_sel:DWORD
	v_lshrrev_b32_e32 v5, 8, v1
	v_cmp_eq_u16_e64 s[0:1], v4, v3
	v_cmp_eq_u16_sdwa s[4:5], v5, v4 src0_sel:BYTE_0 src1_sel:DWORD
	v_cmp_eq_u16_sdwa s[6:7], v1, v5 src0_sel:BYTE_0 src1_sel:BYTE_0
	v_mov_b32_e32 v4, 1
	ds_write_b8 v0, v3
	s_waitcnt lgkmcnt(0)
	s_barrier
	s_and_saveexec_b64 s[8:9], vcc
	s_cbranch_execz .LBB13_1
; %bb.3:                                ;   in Loop: Header=BB13_2 Depth=1
	ds_read_u8 v4, v2
	s_waitcnt lgkmcnt(0)
	v_cmp_eq_u16_sdwa s[14:15], v4, v1 src0_sel:DWORD src1_sel:BYTE_0
	v_cndmask_b32_e64 v4, 0, 1, s[14:15]
	s_branch .LBB13_1
.LBB13_4:
	s_add_u32 s0, s2, s10
	s_addc_u32 s1, s3, 0
	v_mov_b32_e32 v3, s1
	v_add_co_u32_e32 v2, vcc, s0, v0
	v_addc_co_u32_e32 v3, vcc, 0, v3, vcc
	v_lshrrev_b32_e32 v0, 8, v1
	global_store_byte v[2:3], v1, off
	global_store_byte v[2:3], v0, off offset:256
	global_store_byte_d16_hi v[2:3], v1, off offset:512
	v_lshrrev_b32_e32 v0, 24, v1
	global_store_byte v[2:3], v0, off offset:768
	s_endpgm
	.section	.rodata,"a",@progbits
	.p2align	6, 0x0
	.amdhsa_kernel _Z6kernelI10flag_headsaLj256ELj4ELb0ELj100EEvPKT0_PS1_
		.amdhsa_group_segment_fixed_size 512
		.amdhsa_private_segment_fixed_size 0
		.amdhsa_kernarg_size 16
		.amdhsa_user_sgpr_count 6
		.amdhsa_user_sgpr_private_segment_buffer 1
		.amdhsa_user_sgpr_dispatch_ptr 0
		.amdhsa_user_sgpr_queue_ptr 0
		.amdhsa_user_sgpr_kernarg_segment_ptr 1
		.amdhsa_user_sgpr_dispatch_id 0
		.amdhsa_user_sgpr_flat_scratch_init 0
		.amdhsa_user_sgpr_private_segment_size 0
		.amdhsa_uses_dynamic_stack 0
		.amdhsa_system_sgpr_private_segment_wavefront_offset 0
		.amdhsa_system_sgpr_workgroup_id_x 1
		.amdhsa_system_sgpr_workgroup_id_y 0
		.amdhsa_system_sgpr_workgroup_id_z 0
		.amdhsa_system_sgpr_workgroup_info 0
		.amdhsa_system_vgpr_workitem_id 0
		.amdhsa_next_free_vgpr 8
		.amdhsa_next_free_sgpr 16
		.amdhsa_reserve_vcc 1
		.amdhsa_reserve_flat_scratch 0
		.amdhsa_float_round_mode_32 0
		.amdhsa_float_round_mode_16_64 0
		.amdhsa_float_denorm_mode_32 3
		.amdhsa_float_denorm_mode_16_64 3
		.amdhsa_dx10_clamp 1
		.amdhsa_ieee_mode 1
		.amdhsa_fp16_overflow 0
		.amdhsa_exception_fp_ieee_invalid_op 0
		.amdhsa_exception_fp_denorm_src 0
		.amdhsa_exception_fp_ieee_div_zero 0
		.amdhsa_exception_fp_ieee_overflow 0
		.amdhsa_exception_fp_ieee_underflow 0
		.amdhsa_exception_fp_ieee_inexact 0
		.amdhsa_exception_int_div_zero 0
	.end_amdhsa_kernel
	.section	.text._Z6kernelI10flag_headsaLj256ELj4ELb0ELj100EEvPKT0_PS1_,"axG",@progbits,_Z6kernelI10flag_headsaLj256ELj4ELb0ELj100EEvPKT0_PS1_,comdat
.Lfunc_end13:
	.size	_Z6kernelI10flag_headsaLj256ELj4ELb0ELj100EEvPKT0_PS1_, .Lfunc_end13-_Z6kernelI10flag_headsaLj256ELj4ELb0ELj100EEvPKT0_PS1_
                                        ; -- End function
	.set _Z6kernelI10flag_headsaLj256ELj4ELb0ELj100EEvPKT0_PS1_.num_vgpr, 8
	.set _Z6kernelI10flag_headsaLj256ELj4ELb0ELj100EEvPKT0_PS1_.num_agpr, 0
	.set _Z6kernelI10flag_headsaLj256ELj4ELb0ELj100EEvPKT0_PS1_.numbered_sgpr, 16
	.set _Z6kernelI10flag_headsaLj256ELj4ELb0ELj100EEvPKT0_PS1_.num_named_barrier, 0
	.set _Z6kernelI10flag_headsaLj256ELj4ELb0ELj100EEvPKT0_PS1_.private_seg_size, 0
	.set _Z6kernelI10flag_headsaLj256ELj4ELb0ELj100EEvPKT0_PS1_.uses_vcc, 1
	.set _Z6kernelI10flag_headsaLj256ELj4ELb0ELj100EEvPKT0_PS1_.uses_flat_scratch, 0
	.set _Z6kernelI10flag_headsaLj256ELj4ELb0ELj100EEvPKT0_PS1_.has_dyn_sized_stack, 0
	.set _Z6kernelI10flag_headsaLj256ELj4ELb0ELj100EEvPKT0_PS1_.has_recursion, 0
	.set _Z6kernelI10flag_headsaLj256ELj4ELb0ELj100EEvPKT0_PS1_.has_indirect_call, 0
	.section	.AMDGPU.csdata,"",@progbits
; Kernel info:
; codeLenInByte = 376
; TotalNumSgprs: 20
; NumVgprs: 8
; ScratchSize: 0
; MemoryBound: 0
; FloatMode: 240
; IeeeMode: 1
; LDSByteSize: 512 bytes/workgroup (compile time only)
; SGPRBlocks: 2
; VGPRBlocks: 1
; NumSGPRsForWavesPerEU: 20
; NumVGPRsForWavesPerEU: 8
; Occupancy: 10
; WaveLimiterHint : 1
; COMPUTE_PGM_RSRC2:SCRATCH_EN: 0
; COMPUTE_PGM_RSRC2:USER_SGPR: 6
; COMPUTE_PGM_RSRC2:TRAP_HANDLER: 0
; COMPUTE_PGM_RSRC2:TGID_X_EN: 1
; COMPUTE_PGM_RSRC2:TGID_Y_EN: 0
; COMPUTE_PGM_RSRC2:TGID_Z_EN: 0
; COMPUTE_PGM_RSRC2:TIDIG_COMP_CNT: 0
	.section	.text._Z6kernelI10flag_headsaLj256ELj8ELb0ELj100EEvPKT0_PS1_,"axG",@progbits,_Z6kernelI10flag_headsaLj256ELj8ELb0ELj100EEvPKT0_PS1_,comdat
	.protected	_Z6kernelI10flag_headsaLj256ELj8ELb0ELj100EEvPKT0_PS1_ ; -- Begin function _Z6kernelI10flag_headsaLj256ELj8ELb0ELj100EEvPKT0_PS1_
	.globl	_Z6kernelI10flag_headsaLj256ELj8ELb0ELj100EEvPKT0_PS1_
	.p2align	8
	.type	_Z6kernelI10flag_headsaLj256ELj8ELb0ELj100EEvPKT0_PS1_,@function
_Z6kernelI10flag_headsaLj256ELj8ELb0ELj100EEvPKT0_PS1_: ; @_Z6kernelI10flag_headsaLj256ELj8ELb0ELj100EEvPKT0_PS1_
; %bb.0:
	s_load_dwordx4 s[0:3], s[4:5], 0x0
	s_lshl_b32 s4, s6, 11
	s_movk_i32 s5, 0x64
	s_movk_i32 s6, 0xff
	v_cmp_ne_u32_e32 vcc, 0, v0
	s_waitcnt lgkmcnt(0)
	s_add_u32 s0, s0, s4
	s_addc_u32 s1, s1, 0
	global_load_ubyte v1, v0, s[0:1] offset:256
	global_load_ubyte v2, v0, s[0:1] offset:1536
	;; [unrolled: 1-line block ×4, first 2 shown]
	global_load_ubyte v6, v0, s[0:1]
	global_load_ubyte v7, v0, s[0:1] offset:768
	global_load_ubyte v8, v0, s[0:1] offset:1280
	;; [unrolled: 1-line block ×3, first 2 shown]
	s_mov_b32 s0, 0xc0c0004
	v_add_u32_e32 v5, -1, v0
	s_waitcnt vmcnt(3)
	v_perm_b32 v1, v6, v1, s0
	s_waitcnt vmcnt(2)
	v_perm_b32 v4, v4, v7, s0
	;; [unrolled: 2-line block ×4, first 2 shown]
	v_lshl_or_b32 v1, v4, 16, v1
	v_lshl_or_b32 v2, v2, 16, v3
	v_mov_b32_e32 v6, 8
	s_branch .LBB14_2
.LBB14_1:                               ;   in Loop: Header=BB14_2 Depth=1
	s_or_b64 exec, exec, s[0:1]
	v_add_u16_e32 v10, v12, v1
	v_add_u16_sdwa v8, v12, v8 dst_sel:BYTE_1 dst_unused:UNUSED_PAD src0_sel:BYTE_1 src1_sel:DWORD
	v_or_b32_sdwa v8, v10, v8 dst_sel:DWORD dst_unused:UNUSED_PAD src0_sel:BYTE_0 src1_sel:DWORD
	v_add_u16_sdwa v1, v12, v1 dst_sel:DWORD dst_unused:UNUSED_PAD src0_sel:WORD_1 src1_sel:WORD_1
	v_add_u16_sdwa v10, v12, v3 dst_sel:BYTE_1 dst_unused:UNUSED_PAD src0_sel:BYTE_3 src1_sel:DWORD
	v_or_b32_sdwa v3, v1, v10 dst_sel:DWORD dst_unused:UNUSED_PAD src0_sel:BYTE_0 src1_sel:DWORD
	v_add_u16_e32 v1, v9, v2
	v_add_u16_sdwa v7, v9, v7 dst_sel:BYTE_1 dst_unused:UNUSED_PAD src0_sel:BYTE_1 src1_sel:DWORD
	v_or_b32_sdwa v7, v1, v7 dst_sel:DWORD dst_unused:UNUSED_PAD src0_sel:BYTE_0 src1_sel:DWORD
	v_add_u16_sdwa v1, v9, v2 dst_sel:DWORD dst_unused:UNUSED_PAD src0_sel:WORD_1 src1_sel:WORD_1
	v_add_u16_sdwa v2, v9, v4 dst_sel:BYTE_1 dst_unused:UNUSED_PAD src0_sel:BYTE_3 src1_sel:DWORD
	v_or_b32_sdwa v4, v1, v2 dst_sel:DWORD dst_unused:UNUSED_PAD src0_sel:BYTE_0 src1_sel:DWORD
	v_lshrrev_b32_sdwa v9, v6, v7 dst_sel:BYTE_1 dst_unused:UNUSED_PAD src0_sel:DWORD src1_sel:WORD_0
	v_lshrrev_b32_sdwa v2, v6, v2 dst_sel:BYTE_1 dst_unused:UNUSED_PAD src0_sel:DWORD src1_sel:DWORD
	v_lshrrev_b32_sdwa v1, v6, v8 dst_sel:BYTE_1 dst_unused:UNUSED_PAD src0_sel:DWORD src1_sel:WORD_0
	v_lshrrev_b32_sdwa v10, v6, v10 dst_sel:BYTE_1 dst_unused:UNUSED_PAD src0_sel:DWORD src1_sel:DWORD
	v_or_b32_sdwa v1, v8, v1 dst_sel:DWORD dst_unused:UNUSED_PAD src0_sel:BYTE_0 src1_sel:DWORD
	v_or_b32_sdwa v10, v3, v10 dst_sel:WORD_1 dst_unused:UNUSED_PAD src0_sel:BYTE_0 src1_sel:DWORD
	v_or_b32_sdwa v9, v7, v9 dst_sel:DWORD dst_unused:UNUSED_PAD src0_sel:BYTE_0 src1_sel:DWORD
	v_or_b32_sdwa v2, v4, v2 dst_sel:WORD_1 dst_unused:UNUSED_PAD src0_sel:BYTE_0 src1_sel:DWORD
	s_add_i32 s5, s5, -1
	v_or_b32_sdwa v1, v1, v10 dst_sel:DWORD dst_unused:UNUSED_PAD src0_sel:WORD_0 src1_sel:DWORD
	s_cmp_lg_u32 s5, 0
	v_or_b32_sdwa v2, v9, v2 dst_sel:DWORD dst_unused:UNUSED_PAD src0_sel:WORD_0 src1_sel:DWORD
	s_barrier
	s_cbranch_scc0 .LBB14_4
.LBB14_2:                               ; =>This Inner Loop Header: Depth=1
	v_lshrrev_b64 v[3:4], 24, v[1:2]
	v_and_b32_sdwa v10, v2, s6 dst_sel:DWORD dst_unused:UNUSED_PAD src0_sel:WORD_1 src1_sel:DWORD
	v_lshrrev_b32_e32 v4, 24, v2
	v_lshrrev_b32_e32 v7, 8, v2
	v_cmp_eq_u16_e64 s[0:1], v10, v4
	v_cndmask_b32_e64 v12, 0, 1, s[0:1]
	v_cmp_eq_u16_sdwa s[0:1], v7, v10 src0_sel:BYTE_0 src1_sel:DWORD
	v_and_b32_sdwa v9, v1, s6 dst_sel:DWORD dst_unused:UNUSED_PAD src0_sel:WORD_1 src1_sel:DWORD
	v_cndmask_b32_e64 v13, 0, 1, s[0:1]
	v_cmp_eq_u16_sdwa s[0:1], v2, v7 src0_sel:BYTE_0 src1_sel:BYTE_0
	v_cndmask_b32_e64 v14, 0, 1, s[0:1]
	v_cmp_eq_u16_sdwa s[0:1], v9, v3 src0_sel:DWORD src1_sel:BYTE_0
	v_cndmask_b32_e64 v10, 0, 1, s[0:1]
	v_cmp_eq_u16_sdwa s[0:1], v1, v9 src0_sel:BYTE_1 src1_sel:DWORD
	v_lshrrev_b32_e32 v8, 8, v1
	v_lshlrev_b16_e32 v15, 8, v10
	v_cndmask_b32_e64 v9, 0, 1, s[0:1]
	v_cmp_eq_u16_sdwa s[0:1], v1, v2 src0_sel:BYTE_3 src1_sel:BYTE_0
	v_or_b32_e32 v10, v9, v15
	v_cndmask_b32_e64 v9, 0, 1, s[0:1]
	v_cmp_eq_u16_sdwa s[0:1], v1, v8 src0_sel:BYTE_0 src1_sel:BYTE_0
	v_cndmask_b32_e64 v11, 0, 1, s[0:1]
	v_lshlrev_b16_e32 v14, 8, v14
	v_lshlrev_b16_e32 v12, 8, v12
	;; [unrolled: 1-line block ×3, first 2 shown]
	v_or_b32_e32 v9, v9, v14
	v_or_b32_sdwa v12, v13, v12 dst_sel:WORD_1 dst_unused:UNUSED_PAD src0_sel:DWORD src1_sel:DWORD
	v_or_b32_e32 v11, 1, v11
	v_or_b32_sdwa v9, v9, v12 dst_sel:DWORD dst_unused:UNUSED_PAD src0_sel:WORD_0 src1_sel:DWORD
	v_and_b32_e32 v12, 1, v10
	v_lshrrev_b32_sdwa v13, v6, v15 dst_sel:BYTE_1 dst_unused:UNUSED_PAD src0_sel:DWORD src1_sel:DWORD
	v_or_b32_sdwa v12, v12, v13 dst_sel:WORD_1 dst_unused:UNUSED_PAD src0_sel:DWORD src1_sel:DWORD
	v_lshrrev_b32_sdwa v13, v6, v11 dst_sel:BYTE_1 dst_unused:UNUSED_PAD src0_sel:DWORD src1_sel:WORD_0
	v_or_b32_e32 v13, 1, v13
	v_or_b32_sdwa v12, v13, v12 dst_sel:DWORD dst_unused:UNUSED_PAD src0_sel:WORD_0 src1_sel:DWORD
	ds_write_b8 v0, v4
	s_waitcnt lgkmcnt(0)
	s_barrier
	s_and_saveexec_b64 s[0:1], vcc
	s_cbranch_execz .LBB14_1
; %bb.3:                                ;   in Loop: Header=BB14_2 Depth=1
	ds_read_u8 v12, v5
	v_lshlrev_b32_e32 v10, 16, v10
	v_or_b32_sdwa v10, v11, v10 dst_sel:DWORD dst_unused:UNUSED_PAD src0_sel:WORD_0 src1_sel:DWORD
	v_lshrrev_b32_sdwa v11, v6, v10 dst_sel:BYTE_1 dst_unused:UNUSED_PAD src0_sel:DWORD src1_sel:DWORD
	s_waitcnt lgkmcnt(0)
	v_cmp_eq_u16_sdwa s[8:9], v12, v1 src0_sel:DWORD src1_sel:BYTE_0
	v_cndmask_b32_e64 v12, 0, 1, s[8:9]
	v_or_b32_e32 v11, v12, v11
	v_lshrrev_b32_e32 v12, 24, v10
	v_lshlrev_b16_e32 v12, 8, v12
	v_and_b32_sdwa v10, v10, s6 dst_sel:DWORD dst_unused:UNUSED_PAD src0_sel:WORD_1 src1_sel:DWORD
	v_or_b32_sdwa v10, v10, v12 dst_sel:WORD_1 dst_unused:UNUSED_PAD src0_sel:DWORD src1_sel:DWORD
	v_or_b32_sdwa v12, v11, v10 dst_sel:DWORD dst_unused:UNUSED_PAD src0_sel:WORD_0 src1_sel:DWORD
	s_branch .LBB14_1
.LBB14_4:
	v_lshlrev_b32_e32 v1, 16, v3
	s_add_u32 s0, s2, s4
	v_or_b32_sdwa v2, v8, v1 dst_sel:DWORD dst_unused:UNUSED_PAD src0_sel:WORD_0 src1_sel:DWORD
	v_lshlrev_b32_e32 v1, 16, v4
	s_addc_u32 s1, s3, 0
	v_or_b32_sdwa v3, v7, v1 dst_sel:DWORD dst_unused:UNUSED_PAD src0_sel:WORD_0 src1_sel:DWORD
	v_mov_b32_e32 v1, s1
	v_add_co_u32_e32 v0, vcc, s0, v0
	v_addc_co_u32_e32 v1, vcc, 0, v1, vcc
	v_lshrrev_b32_e32 v4, 8, v2
	global_store_byte v[0:1], v2, off
	global_store_byte v[0:1], v4, off offset:256
	global_store_byte_d16_hi v[0:1], v2, off offset:512
	v_lshrrev_b32_e32 v2, 24, v2
	global_store_byte v[0:1], v2, off offset:768
	global_store_byte v[0:1], v3, off offset:1024
	v_lshrrev_b32_e32 v2, 8, v3
	global_store_byte v[0:1], v2, off offset:1280
	global_store_byte_d16_hi v[0:1], v3, off offset:1536
	v_lshrrev_b32_e32 v2, 24, v3
	global_store_byte v[0:1], v2, off offset:1792
	s_endpgm
	.section	.rodata,"a",@progbits
	.p2align	6, 0x0
	.amdhsa_kernel _Z6kernelI10flag_headsaLj256ELj8ELb0ELj100EEvPKT0_PS1_
		.amdhsa_group_segment_fixed_size 512
		.amdhsa_private_segment_fixed_size 0
		.amdhsa_kernarg_size 16
		.amdhsa_user_sgpr_count 6
		.amdhsa_user_sgpr_private_segment_buffer 1
		.amdhsa_user_sgpr_dispatch_ptr 0
		.amdhsa_user_sgpr_queue_ptr 0
		.amdhsa_user_sgpr_kernarg_segment_ptr 1
		.amdhsa_user_sgpr_dispatch_id 0
		.amdhsa_user_sgpr_flat_scratch_init 0
		.amdhsa_user_sgpr_private_segment_size 0
		.amdhsa_uses_dynamic_stack 0
		.amdhsa_system_sgpr_private_segment_wavefront_offset 0
		.amdhsa_system_sgpr_workgroup_id_x 1
		.amdhsa_system_sgpr_workgroup_id_y 0
		.amdhsa_system_sgpr_workgroup_id_z 0
		.amdhsa_system_sgpr_workgroup_info 0
		.amdhsa_system_vgpr_workitem_id 0
		.amdhsa_next_free_vgpr 16
		.amdhsa_next_free_sgpr 10
		.amdhsa_reserve_vcc 1
		.amdhsa_reserve_flat_scratch 0
		.amdhsa_float_round_mode_32 0
		.amdhsa_float_round_mode_16_64 0
		.amdhsa_float_denorm_mode_32 3
		.amdhsa_float_denorm_mode_16_64 3
		.amdhsa_dx10_clamp 1
		.amdhsa_ieee_mode 1
		.amdhsa_fp16_overflow 0
		.amdhsa_exception_fp_ieee_invalid_op 0
		.amdhsa_exception_fp_denorm_src 0
		.amdhsa_exception_fp_ieee_div_zero 0
		.amdhsa_exception_fp_ieee_overflow 0
		.amdhsa_exception_fp_ieee_underflow 0
		.amdhsa_exception_fp_ieee_inexact 0
		.amdhsa_exception_int_div_zero 0
	.end_amdhsa_kernel
	.section	.text._Z6kernelI10flag_headsaLj256ELj8ELb0ELj100EEvPKT0_PS1_,"axG",@progbits,_Z6kernelI10flag_headsaLj256ELj8ELb0ELj100EEvPKT0_PS1_,comdat
.Lfunc_end14:
	.size	_Z6kernelI10flag_headsaLj256ELj8ELb0ELj100EEvPKT0_PS1_, .Lfunc_end14-_Z6kernelI10flag_headsaLj256ELj8ELb0ELj100EEvPKT0_PS1_
                                        ; -- End function
	.set _Z6kernelI10flag_headsaLj256ELj8ELb0ELj100EEvPKT0_PS1_.num_vgpr, 16
	.set _Z6kernelI10flag_headsaLj256ELj8ELb0ELj100EEvPKT0_PS1_.num_agpr, 0
	.set _Z6kernelI10flag_headsaLj256ELj8ELb0ELj100EEvPKT0_PS1_.numbered_sgpr, 10
	.set _Z6kernelI10flag_headsaLj256ELj8ELb0ELj100EEvPKT0_PS1_.num_named_barrier, 0
	.set _Z6kernelI10flag_headsaLj256ELj8ELb0ELj100EEvPKT0_PS1_.private_seg_size, 0
	.set _Z6kernelI10flag_headsaLj256ELj8ELb0ELj100EEvPKT0_PS1_.uses_vcc, 1
	.set _Z6kernelI10flag_headsaLj256ELj8ELb0ELj100EEvPKT0_PS1_.uses_flat_scratch, 0
	.set _Z6kernelI10flag_headsaLj256ELj8ELb0ELj100EEvPKT0_PS1_.has_dyn_sized_stack, 0
	.set _Z6kernelI10flag_headsaLj256ELj8ELb0ELj100EEvPKT0_PS1_.has_recursion, 0
	.set _Z6kernelI10flag_headsaLj256ELj8ELb0ELj100EEvPKT0_PS1_.has_indirect_call, 0
	.section	.AMDGPU.csdata,"",@progbits
; Kernel info:
; codeLenInByte = 844
; TotalNumSgprs: 14
; NumVgprs: 16
; ScratchSize: 0
; MemoryBound: 0
; FloatMode: 240
; IeeeMode: 1
; LDSByteSize: 512 bytes/workgroup (compile time only)
; SGPRBlocks: 1
; VGPRBlocks: 3
; NumSGPRsForWavesPerEU: 14
; NumVGPRsForWavesPerEU: 16
; Occupancy: 10
; WaveLimiterHint : 1
; COMPUTE_PGM_RSRC2:SCRATCH_EN: 0
; COMPUTE_PGM_RSRC2:USER_SGPR: 6
; COMPUTE_PGM_RSRC2:TRAP_HANDLER: 0
; COMPUTE_PGM_RSRC2:TGID_X_EN: 1
; COMPUTE_PGM_RSRC2:TGID_Y_EN: 0
; COMPUTE_PGM_RSRC2:TGID_Z_EN: 0
; COMPUTE_PGM_RSRC2:TIDIG_COMP_CNT: 0
	.section	.text._Z6kernelI10flag_headsaLj256ELj1ELb1ELj100EEvPKT0_PS1_,"axG",@progbits,_Z6kernelI10flag_headsaLj256ELj1ELb1ELj100EEvPKT0_PS1_,comdat
	.protected	_Z6kernelI10flag_headsaLj256ELj1ELb1ELj100EEvPKT0_PS1_ ; -- Begin function _Z6kernelI10flag_headsaLj256ELj1ELb1ELj100EEvPKT0_PS1_
	.globl	_Z6kernelI10flag_headsaLj256ELj1ELb1ELj100EEvPKT0_PS1_
	.p2align	8
	.type	_Z6kernelI10flag_headsaLj256ELj1ELb1ELj100EEvPKT0_PS1_,@function
_Z6kernelI10flag_headsaLj256ELj1ELb1ELj100EEvPKT0_PS1_: ; @_Z6kernelI10flag_headsaLj256ELj1ELb1ELj100EEvPKT0_PS1_
; %bb.0:
	s_load_dwordx4 s[0:3], s[4:5], 0x0
	s_lshl_b32 s4, s6, 8
	v_cmp_ne_u32_e32 vcc, 0, v0
	v_add_u32_e32 v2, -1, v0
	s_movk_i32 s5, 0x64
	s_waitcnt lgkmcnt(0)
	s_add_u32 s0, s0, s4
	s_addc_u32 s1, s1, 0
	global_load_ubyte v1, v0, s[0:1]
	s_branch .LBB15_2
.LBB15_1:                               ;   in Loop: Header=BB15_2 Depth=1
	s_or_b64 exec, exec, s[0:1]
	s_waitcnt lgkmcnt(0)
	v_cmp_eq_u16_sdwa s[0:1], v3, v1 src0_sel:BYTE_0 src1_sel:BYTE_0
	v_cndmask_b32_e64 v3, 0, 1, s[0:1]
	s_add_i32 s5, s5, -1
	v_add_u16_e32 v1, v1, v3
	s_cmp_lg_u32 s5, 0
	s_barrier
	s_cbranch_scc0 .LBB15_4
.LBB15_2:                               ; =>This Inner Loop Header: Depth=1
	v_mov_b32_e32 v3, 0x7b
	s_waitcnt vmcnt(0)
	ds_write_b8 v0, v1
	s_waitcnt lgkmcnt(0)
	s_barrier
	s_and_saveexec_b64 s[0:1], vcc
	s_cbranch_execz .LBB15_1
; %bb.3:                                ;   in Loop: Header=BB15_2 Depth=1
	ds_read_u8 v3, v2
	s_branch .LBB15_1
.LBB15_4:
	s_add_u32 s0, s2, s4
	s_addc_u32 s1, s3, 0
	v_mov_b32_e32 v3, s1
	v_add_co_u32_e32 v2, vcc, s0, v0
	v_addc_co_u32_e32 v3, vcc, 0, v3, vcc
	global_store_byte v[2:3], v1, off
	s_endpgm
	.section	.rodata,"a",@progbits
	.p2align	6, 0x0
	.amdhsa_kernel _Z6kernelI10flag_headsaLj256ELj1ELb1ELj100EEvPKT0_PS1_
		.amdhsa_group_segment_fixed_size 512
		.amdhsa_private_segment_fixed_size 0
		.amdhsa_kernarg_size 16
		.amdhsa_user_sgpr_count 6
		.amdhsa_user_sgpr_private_segment_buffer 1
		.amdhsa_user_sgpr_dispatch_ptr 0
		.amdhsa_user_sgpr_queue_ptr 0
		.amdhsa_user_sgpr_kernarg_segment_ptr 1
		.amdhsa_user_sgpr_dispatch_id 0
		.amdhsa_user_sgpr_flat_scratch_init 0
		.amdhsa_user_sgpr_private_segment_size 0
		.amdhsa_uses_dynamic_stack 0
		.amdhsa_system_sgpr_private_segment_wavefront_offset 0
		.amdhsa_system_sgpr_workgroup_id_x 1
		.amdhsa_system_sgpr_workgroup_id_y 0
		.amdhsa_system_sgpr_workgroup_id_z 0
		.amdhsa_system_sgpr_workgroup_info 0
		.amdhsa_system_vgpr_workitem_id 0
		.amdhsa_next_free_vgpr 4
		.amdhsa_next_free_sgpr 7
		.amdhsa_reserve_vcc 1
		.amdhsa_reserve_flat_scratch 0
		.amdhsa_float_round_mode_32 0
		.amdhsa_float_round_mode_16_64 0
		.amdhsa_float_denorm_mode_32 3
		.amdhsa_float_denorm_mode_16_64 3
		.amdhsa_dx10_clamp 1
		.amdhsa_ieee_mode 1
		.amdhsa_fp16_overflow 0
		.amdhsa_exception_fp_ieee_invalid_op 0
		.amdhsa_exception_fp_denorm_src 0
		.amdhsa_exception_fp_ieee_div_zero 0
		.amdhsa_exception_fp_ieee_overflow 0
		.amdhsa_exception_fp_ieee_underflow 0
		.amdhsa_exception_fp_ieee_inexact 0
		.amdhsa_exception_int_div_zero 0
	.end_amdhsa_kernel
	.section	.text._Z6kernelI10flag_headsaLj256ELj1ELb1ELj100EEvPKT0_PS1_,"axG",@progbits,_Z6kernelI10flag_headsaLj256ELj1ELb1ELj100EEvPKT0_PS1_,comdat
.Lfunc_end15:
	.size	_Z6kernelI10flag_headsaLj256ELj1ELb1ELj100EEvPKT0_PS1_, .Lfunc_end15-_Z6kernelI10flag_headsaLj256ELj1ELb1ELj100EEvPKT0_PS1_
                                        ; -- End function
	.set _Z6kernelI10flag_headsaLj256ELj1ELb1ELj100EEvPKT0_PS1_.num_vgpr, 4
	.set _Z6kernelI10flag_headsaLj256ELj1ELb1ELj100EEvPKT0_PS1_.num_agpr, 0
	.set _Z6kernelI10flag_headsaLj256ELj1ELb1ELj100EEvPKT0_PS1_.numbered_sgpr, 7
	.set _Z6kernelI10flag_headsaLj256ELj1ELb1ELj100EEvPKT0_PS1_.num_named_barrier, 0
	.set _Z6kernelI10flag_headsaLj256ELj1ELb1ELj100EEvPKT0_PS1_.private_seg_size, 0
	.set _Z6kernelI10flag_headsaLj256ELj1ELb1ELj100EEvPKT0_PS1_.uses_vcc, 1
	.set _Z6kernelI10flag_headsaLj256ELj1ELb1ELj100EEvPKT0_PS1_.uses_flat_scratch, 0
	.set _Z6kernelI10flag_headsaLj256ELj1ELb1ELj100EEvPKT0_PS1_.has_dyn_sized_stack, 0
	.set _Z6kernelI10flag_headsaLj256ELj1ELb1ELj100EEvPKT0_PS1_.has_recursion, 0
	.set _Z6kernelI10flag_headsaLj256ELj1ELb1ELj100EEvPKT0_PS1_.has_indirect_call, 0
	.section	.AMDGPU.csdata,"",@progbits
; Kernel info:
; codeLenInByte = 172
; TotalNumSgprs: 11
; NumVgprs: 4
; ScratchSize: 0
; MemoryBound: 0
; FloatMode: 240
; IeeeMode: 1
; LDSByteSize: 512 bytes/workgroup (compile time only)
; SGPRBlocks: 1
; VGPRBlocks: 0
; NumSGPRsForWavesPerEU: 11
; NumVGPRsForWavesPerEU: 4
; Occupancy: 10
; WaveLimiterHint : 0
; COMPUTE_PGM_RSRC2:SCRATCH_EN: 0
; COMPUTE_PGM_RSRC2:USER_SGPR: 6
; COMPUTE_PGM_RSRC2:TRAP_HANDLER: 0
; COMPUTE_PGM_RSRC2:TGID_X_EN: 1
; COMPUTE_PGM_RSRC2:TGID_Y_EN: 0
; COMPUTE_PGM_RSRC2:TGID_Z_EN: 0
; COMPUTE_PGM_RSRC2:TIDIG_COMP_CNT: 0
	.section	.text._Z6kernelI10flag_headsaLj256ELj2ELb1ELj100EEvPKT0_PS1_,"axG",@progbits,_Z6kernelI10flag_headsaLj256ELj2ELb1ELj100EEvPKT0_PS1_,comdat
	.protected	_Z6kernelI10flag_headsaLj256ELj2ELb1ELj100EEvPKT0_PS1_ ; -- Begin function _Z6kernelI10flag_headsaLj256ELj2ELb1ELj100EEvPKT0_PS1_
	.globl	_Z6kernelI10flag_headsaLj256ELj2ELb1ELj100EEvPKT0_PS1_
	.p2align	8
	.type	_Z6kernelI10flag_headsaLj256ELj2ELb1ELj100EEvPKT0_PS1_,@function
_Z6kernelI10flag_headsaLj256ELj2ELb1ELj100EEvPKT0_PS1_: ; @_Z6kernelI10flag_headsaLj256ELj2ELb1ELj100EEvPKT0_PS1_
; %bb.0:
	s_load_dwordx4 s[0:3], s[4:5], 0x0
	s_lshl_b32 s4, s6, 9
	v_cmp_ne_u32_e32 vcc, 0, v0
	v_add_u32_e32 v1, -1, v0
	s_movk_i32 s5, 0x64
	s_waitcnt lgkmcnt(0)
	s_add_u32 s0, s0, s4
	s_addc_u32 s1, s1, 0
	global_load_ubyte v2, v0, s[0:1] offset:256
	global_load_ubyte v3, v0, s[0:1]
	s_mov_b32 s0, 0xc0c0004
	s_waitcnt vmcnt(0)
	v_perm_b32 v2, v3, v2, s0
	s_branch .LBB16_2
.LBB16_1:                               ;   in Loop: Header=BB16_2 Depth=1
	s_or_b64 exec, exec, s[0:1]
	v_cmp_eq_u16_sdwa s[0:1], v2, v4 src0_sel:BYTE_0 src1_sel:DWORD
	v_cndmask_b32_e64 v5, 0, 1, s[0:1]
	s_waitcnt lgkmcnt(0)
	v_cmp_eq_u16_sdwa s[0:1], v3, v2 src0_sel:BYTE_0 src1_sel:BYTE_0
	v_cndmask_b32_e64 v3, 0, 1, s[0:1]
	v_add_u16_e32 v4, v4, v5
	v_add_u16_e32 v3, v2, v3
	v_lshlrev_b16_e32 v2, 8, v4
	v_or_b32_sdwa v2, v3, v2 dst_sel:DWORD dst_unused:UNUSED_PAD src0_sel:BYTE_0 src1_sel:DWORD
	s_add_i32 s5, s5, -1
	v_and_b32_e32 v2, 0xffff, v2
	s_cmp_lg_u32 s5, 0
	s_barrier
	s_cbranch_scc0 .LBB16_4
.LBB16_2:                               ; =>This Inner Loop Header: Depth=1
	v_lshrrev_b16_e32 v4, 8, v2
	v_mov_b32_e32 v3, 0x7b
	ds_write_b8 v0, v4
	s_waitcnt lgkmcnt(0)
	s_barrier
	s_and_saveexec_b64 s[0:1], vcc
	s_cbranch_execz .LBB16_1
; %bb.3:                                ;   in Loop: Header=BB16_2 Depth=1
	ds_read_u8 v3, v1
	s_branch .LBB16_1
.LBB16_4:
	s_add_u32 s0, s2, s4
	s_addc_u32 s1, s3, 0
	v_mov_b32_e32 v1, s1
	v_add_co_u32_e32 v0, vcc, s0, v0
	v_addc_co_u32_e32 v1, vcc, 0, v1, vcc
	global_store_byte v[0:1], v3, off
	global_store_byte v[0:1], v4, off offset:256
	s_endpgm
	.section	.rodata,"a",@progbits
	.p2align	6, 0x0
	.amdhsa_kernel _Z6kernelI10flag_headsaLj256ELj2ELb1ELj100EEvPKT0_PS1_
		.amdhsa_group_segment_fixed_size 512
		.amdhsa_private_segment_fixed_size 0
		.amdhsa_kernarg_size 16
		.amdhsa_user_sgpr_count 6
		.amdhsa_user_sgpr_private_segment_buffer 1
		.amdhsa_user_sgpr_dispatch_ptr 0
		.amdhsa_user_sgpr_queue_ptr 0
		.amdhsa_user_sgpr_kernarg_segment_ptr 1
		.amdhsa_user_sgpr_dispatch_id 0
		.amdhsa_user_sgpr_flat_scratch_init 0
		.amdhsa_user_sgpr_private_segment_size 0
		.amdhsa_uses_dynamic_stack 0
		.amdhsa_system_sgpr_private_segment_wavefront_offset 0
		.amdhsa_system_sgpr_workgroup_id_x 1
		.amdhsa_system_sgpr_workgroup_id_y 0
		.amdhsa_system_sgpr_workgroup_id_z 0
		.amdhsa_system_sgpr_workgroup_info 0
		.amdhsa_system_vgpr_workitem_id 0
		.amdhsa_next_free_vgpr 6
		.amdhsa_next_free_sgpr 7
		.amdhsa_reserve_vcc 1
		.amdhsa_reserve_flat_scratch 0
		.amdhsa_float_round_mode_32 0
		.amdhsa_float_round_mode_16_64 0
		.amdhsa_float_denorm_mode_32 3
		.amdhsa_float_denorm_mode_16_64 3
		.amdhsa_dx10_clamp 1
		.amdhsa_ieee_mode 1
		.amdhsa_fp16_overflow 0
		.amdhsa_exception_fp_ieee_invalid_op 0
		.amdhsa_exception_fp_denorm_src 0
		.amdhsa_exception_fp_ieee_div_zero 0
		.amdhsa_exception_fp_ieee_overflow 0
		.amdhsa_exception_fp_ieee_underflow 0
		.amdhsa_exception_fp_ieee_inexact 0
		.amdhsa_exception_int_div_zero 0
	.end_amdhsa_kernel
	.section	.text._Z6kernelI10flag_headsaLj256ELj2ELb1ELj100EEvPKT0_PS1_,"axG",@progbits,_Z6kernelI10flag_headsaLj256ELj2ELb1ELj100EEvPKT0_PS1_,comdat
.Lfunc_end16:
	.size	_Z6kernelI10flag_headsaLj256ELj2ELb1ELj100EEvPKT0_PS1_, .Lfunc_end16-_Z6kernelI10flag_headsaLj256ELj2ELb1ELj100EEvPKT0_PS1_
                                        ; -- End function
	.set _Z6kernelI10flag_headsaLj256ELj2ELb1ELj100EEvPKT0_PS1_.num_vgpr, 6
	.set _Z6kernelI10flag_headsaLj256ELj2ELb1ELj100EEvPKT0_PS1_.num_agpr, 0
	.set _Z6kernelI10flag_headsaLj256ELj2ELb1ELj100EEvPKT0_PS1_.numbered_sgpr, 7
	.set _Z6kernelI10flag_headsaLj256ELj2ELb1ELj100EEvPKT0_PS1_.num_named_barrier, 0
	.set _Z6kernelI10flag_headsaLj256ELj2ELb1ELj100EEvPKT0_PS1_.private_seg_size, 0
	.set _Z6kernelI10flag_headsaLj256ELj2ELb1ELj100EEvPKT0_PS1_.uses_vcc, 1
	.set _Z6kernelI10flag_headsaLj256ELj2ELb1ELj100EEvPKT0_PS1_.uses_flat_scratch, 0
	.set _Z6kernelI10flag_headsaLj256ELj2ELb1ELj100EEvPKT0_PS1_.has_dyn_sized_stack, 0
	.set _Z6kernelI10flag_headsaLj256ELj2ELb1ELj100EEvPKT0_PS1_.has_recursion, 0
	.set _Z6kernelI10flag_headsaLj256ELj2ELb1ELj100EEvPKT0_PS1_.has_indirect_call, 0
	.section	.AMDGPU.csdata,"",@progbits
; Kernel info:
; codeLenInByte = 248
; TotalNumSgprs: 11
; NumVgprs: 6
; ScratchSize: 0
; MemoryBound: 0
; FloatMode: 240
; IeeeMode: 1
; LDSByteSize: 512 bytes/workgroup (compile time only)
; SGPRBlocks: 1
; VGPRBlocks: 1
; NumSGPRsForWavesPerEU: 11
; NumVGPRsForWavesPerEU: 6
; Occupancy: 10
; WaveLimiterHint : 1
; COMPUTE_PGM_RSRC2:SCRATCH_EN: 0
; COMPUTE_PGM_RSRC2:USER_SGPR: 6
; COMPUTE_PGM_RSRC2:TRAP_HANDLER: 0
; COMPUTE_PGM_RSRC2:TGID_X_EN: 1
; COMPUTE_PGM_RSRC2:TGID_Y_EN: 0
; COMPUTE_PGM_RSRC2:TGID_Z_EN: 0
; COMPUTE_PGM_RSRC2:TIDIG_COMP_CNT: 0
	.section	.text._Z6kernelI10flag_headsaLj256ELj3ELb1ELj100EEvPKT0_PS1_,"axG",@progbits,_Z6kernelI10flag_headsaLj256ELj3ELb1ELj100EEvPKT0_PS1_,comdat
	.protected	_Z6kernelI10flag_headsaLj256ELj3ELb1ELj100EEvPKT0_PS1_ ; -- Begin function _Z6kernelI10flag_headsaLj256ELj3ELb1ELj100EEvPKT0_PS1_
	.globl	_Z6kernelI10flag_headsaLj256ELj3ELb1ELj100EEvPKT0_PS1_
	.p2align	8
	.type	_Z6kernelI10flag_headsaLj256ELj3ELb1ELj100EEvPKT0_PS1_,@function
_Z6kernelI10flag_headsaLj256ELj3ELb1ELj100EEvPKT0_PS1_: ; @_Z6kernelI10flag_headsaLj256ELj3ELb1ELj100EEvPKT0_PS1_
; %bb.0:
	s_load_dwordx4 s[0:3], s[4:5], 0x0
	s_mul_i32 s4, s6, 0x300
	v_cmp_ne_u32_e32 vcc, 0, v0
	v_add_u32_e32 v1, -1, v0
	s_movk_i32 s5, 0x64
	s_waitcnt lgkmcnt(0)
	s_add_u32 s0, s0, s4
	s_addc_u32 s1, s1, 0
	global_load_ubyte v2, v0, s[0:1] offset:256
	global_load_ubyte v3, v0, s[0:1] offset:512
	global_load_ubyte v4, v0, s[0:1]
	s_mov_b32 s0, 0xc0c0004
	s_waitcnt vmcnt(0)
	v_perm_b32 v2, v4, v2, s0
	v_lshl_or_b32 v2, v3, 16, v2
	s_branch .LBB17_2
.LBB17_1:                               ;   in Loop: Header=BB17_2 Depth=1
	s_or_b64 exec, exec, s[0:1]
	v_lshrrev_b32_e32 v4, 8, v2
	v_cmp_eq_u16_sdwa s[0:1], v4, v5 src0_sel:BYTE_0 src1_sel:BYTE_0
	v_cndmask_b32_e64 v6, 0, 1, s[0:1]
	v_cmp_eq_u16_sdwa s[0:1], v2, v4 src0_sel:BYTE_0 src1_sel:BYTE_0
	v_cndmask_b32_e64 v7, 0, 1, s[0:1]
	s_waitcnt lgkmcnt(0)
	v_cmp_eq_u16_sdwa s[0:1], v3, v2 src0_sel:BYTE_0 src1_sel:BYTE_0
	v_cndmask_b32_e64 v3, 0, 1, s[0:1]
	v_add_u16_e32 v4, v4, v7
	v_add_u16_e32 v5, v5, v6
	;; [unrolled: 1-line block ×3, first 2 shown]
	v_lshlrev_b16_e32 v2, 8, v4
	v_and_b32_e32 v6, 0xff, v5
	v_or_b32_sdwa v2, v3, v2 dst_sel:DWORD dst_unused:UNUSED_PAD src0_sel:BYTE_0 src1_sel:DWORD
	v_lshlrev_b32_e32 v6, 16, v6
	s_add_i32 s5, s5, -1
	v_or_b32_sdwa v2, v2, v6 dst_sel:DWORD dst_unused:UNUSED_PAD src0_sel:WORD_0 src1_sel:DWORD
	s_cmp_lg_u32 s5, 0
	s_barrier
	s_cbranch_scc0 .LBB17_4
.LBB17_2:                               ; =>This Inner Loop Header: Depth=1
	v_lshrrev_b32_e32 v5, 16, v2
	v_mov_b32_e32 v3, 0x7b
	ds_write_b8 v0, v5
	s_waitcnt lgkmcnt(0)
	s_barrier
	s_and_saveexec_b64 s[0:1], vcc
	s_cbranch_execz .LBB17_1
; %bb.3:                                ;   in Loop: Header=BB17_2 Depth=1
	ds_read_u8 v3, v1
	s_branch .LBB17_1
.LBB17_4:
	s_add_u32 s0, s2, s4
	s_addc_u32 s1, s3, 0
	v_mov_b32_e32 v1, s1
	v_add_co_u32_e32 v0, vcc, s0, v0
	v_addc_co_u32_e32 v1, vcc, 0, v1, vcc
	global_store_byte v[0:1], v3, off
	global_store_byte v[0:1], v4, off offset:256
	global_store_byte v[0:1], v5, off offset:512
	s_endpgm
	.section	.rodata,"a",@progbits
	.p2align	6, 0x0
	.amdhsa_kernel _Z6kernelI10flag_headsaLj256ELj3ELb1ELj100EEvPKT0_PS1_
		.amdhsa_group_segment_fixed_size 512
		.amdhsa_private_segment_fixed_size 0
		.amdhsa_kernarg_size 16
		.amdhsa_user_sgpr_count 6
		.amdhsa_user_sgpr_private_segment_buffer 1
		.amdhsa_user_sgpr_dispatch_ptr 0
		.amdhsa_user_sgpr_queue_ptr 0
		.amdhsa_user_sgpr_kernarg_segment_ptr 1
		.amdhsa_user_sgpr_dispatch_id 0
		.amdhsa_user_sgpr_flat_scratch_init 0
		.amdhsa_user_sgpr_private_segment_size 0
		.amdhsa_uses_dynamic_stack 0
		.amdhsa_system_sgpr_private_segment_wavefront_offset 0
		.amdhsa_system_sgpr_workgroup_id_x 1
		.amdhsa_system_sgpr_workgroup_id_y 0
		.amdhsa_system_sgpr_workgroup_id_z 0
		.amdhsa_system_sgpr_workgroup_info 0
		.amdhsa_system_vgpr_workitem_id 0
		.amdhsa_next_free_vgpr 8
		.amdhsa_next_free_sgpr 7
		.amdhsa_reserve_vcc 1
		.amdhsa_reserve_flat_scratch 0
		.amdhsa_float_round_mode_32 0
		.amdhsa_float_round_mode_16_64 0
		.amdhsa_float_denorm_mode_32 3
		.amdhsa_float_denorm_mode_16_64 3
		.amdhsa_dx10_clamp 1
		.amdhsa_ieee_mode 1
		.amdhsa_fp16_overflow 0
		.amdhsa_exception_fp_ieee_invalid_op 0
		.amdhsa_exception_fp_denorm_src 0
		.amdhsa_exception_fp_ieee_div_zero 0
		.amdhsa_exception_fp_ieee_overflow 0
		.amdhsa_exception_fp_ieee_underflow 0
		.amdhsa_exception_fp_ieee_inexact 0
		.amdhsa_exception_int_div_zero 0
	.end_amdhsa_kernel
	.section	.text._Z6kernelI10flag_headsaLj256ELj3ELb1ELj100EEvPKT0_PS1_,"axG",@progbits,_Z6kernelI10flag_headsaLj256ELj3ELb1ELj100EEvPKT0_PS1_,comdat
.Lfunc_end17:
	.size	_Z6kernelI10flag_headsaLj256ELj3ELb1ELj100EEvPKT0_PS1_, .Lfunc_end17-_Z6kernelI10flag_headsaLj256ELj3ELb1ELj100EEvPKT0_PS1_
                                        ; -- End function
	.set _Z6kernelI10flag_headsaLj256ELj3ELb1ELj100EEvPKT0_PS1_.num_vgpr, 8
	.set _Z6kernelI10flag_headsaLj256ELj3ELb1ELj100EEvPKT0_PS1_.num_agpr, 0
	.set _Z6kernelI10flag_headsaLj256ELj3ELb1ELj100EEvPKT0_PS1_.numbered_sgpr, 7
	.set _Z6kernelI10flag_headsaLj256ELj3ELb1ELj100EEvPKT0_PS1_.num_named_barrier, 0
	.set _Z6kernelI10flag_headsaLj256ELj3ELb1ELj100EEvPKT0_PS1_.private_seg_size, 0
	.set _Z6kernelI10flag_headsaLj256ELj3ELb1ELj100EEvPKT0_PS1_.uses_vcc, 1
	.set _Z6kernelI10flag_headsaLj256ELj3ELb1ELj100EEvPKT0_PS1_.uses_flat_scratch, 0
	.set _Z6kernelI10flag_headsaLj256ELj3ELb1ELj100EEvPKT0_PS1_.has_dyn_sized_stack, 0
	.set _Z6kernelI10flag_headsaLj256ELj3ELb1ELj100EEvPKT0_PS1_.has_recursion, 0
	.set _Z6kernelI10flag_headsaLj256ELj3ELb1ELj100EEvPKT0_PS1_.has_indirect_call, 0
	.section	.AMDGPU.csdata,"",@progbits
; Kernel info:
; codeLenInByte = 312
; TotalNumSgprs: 11
; NumVgprs: 8
; ScratchSize: 0
; MemoryBound: 0
; FloatMode: 240
; IeeeMode: 1
; LDSByteSize: 512 bytes/workgroup (compile time only)
; SGPRBlocks: 1
; VGPRBlocks: 1
; NumSGPRsForWavesPerEU: 11
; NumVGPRsForWavesPerEU: 8
; Occupancy: 10
; WaveLimiterHint : 1
; COMPUTE_PGM_RSRC2:SCRATCH_EN: 0
; COMPUTE_PGM_RSRC2:USER_SGPR: 6
; COMPUTE_PGM_RSRC2:TRAP_HANDLER: 0
; COMPUTE_PGM_RSRC2:TGID_X_EN: 1
; COMPUTE_PGM_RSRC2:TGID_Y_EN: 0
; COMPUTE_PGM_RSRC2:TGID_Z_EN: 0
; COMPUTE_PGM_RSRC2:TIDIG_COMP_CNT: 0
	.section	.text._Z6kernelI10flag_headsaLj256ELj4ELb1ELj100EEvPKT0_PS1_,"axG",@progbits,_Z6kernelI10flag_headsaLj256ELj4ELb1ELj100EEvPKT0_PS1_,comdat
	.protected	_Z6kernelI10flag_headsaLj256ELj4ELb1ELj100EEvPKT0_PS1_ ; -- Begin function _Z6kernelI10flag_headsaLj256ELj4ELb1ELj100EEvPKT0_PS1_
	.globl	_Z6kernelI10flag_headsaLj256ELj4ELb1ELj100EEvPKT0_PS1_
	.p2align	8
	.type	_Z6kernelI10flag_headsaLj256ELj4ELb1ELj100EEvPKT0_PS1_,@function
_Z6kernelI10flag_headsaLj256ELj4ELb1ELj100EEvPKT0_PS1_: ; @_Z6kernelI10flag_headsaLj256ELj4ELb1ELj100EEvPKT0_PS1_
; %bb.0:
	s_load_dwordx4 s[0:3], s[4:5], 0x0
	s_lshl_b32 s4, s6, 10
	s_movk_i32 s5, 0x64
	v_cmp_ne_u32_e32 vcc, 0, v0
	v_add_u32_e32 v1, -1, v0
	s_waitcnt lgkmcnt(0)
	s_add_u32 s0, s0, s4
	s_addc_u32 s1, s1, 0
	global_load_ubyte v2, v0, s[0:1] offset:256
	global_load_ubyte v3, v0, s[0:1] offset:512
	global_load_ubyte v4, v0, s[0:1]
	global_load_ubyte v5, v0, s[0:1] offset:768
	s_mov_b32 s0, 0xc0c0004
	s_movk_i32 s6, 0xff
	s_waitcnt vmcnt(1)
	v_perm_b32 v2, v4, v2, s0
	s_waitcnt vmcnt(0)
	v_perm_b32 v3, v3, v5, s0
	v_lshl_or_b32 v2, v3, 16, v2
	s_branch .LBB18_2
.LBB18_1:                               ;   in Loop: Header=BB18_2 Depth=1
	s_or_b64 exec, exec, s[0:1]
	v_and_b32_sdwa v5, v2, s6 dst_sel:DWORD dst_unused:UNUSED_PAD src0_sel:WORD_1 src1_sel:DWORD
	v_cmp_eq_u16_e64 s[0:1], v5, v3
	v_lshrrev_b32_e32 v6, 8, v2
	v_cndmask_b32_e64 v7, 0, 1, s[0:1]
	v_cmp_eq_u16_sdwa s[0:1], v6, v5 src0_sel:BYTE_0 src1_sel:DWORD
	v_cndmask_b32_e64 v8, 0, 1, s[0:1]
	v_cmp_eq_u16_sdwa s[0:1], v2, v6 src0_sel:BYTE_0 src1_sel:BYTE_0
	v_cndmask_b32_e64 v5, 0, 1, s[0:1]
	s_waitcnt lgkmcnt(0)
	v_cmp_eq_u16_sdwa s[0:1], v4, v2 src0_sel:BYTE_0 src1_sel:BYTE_0
	v_cndmask_b32_e64 v4, 0, 1, s[0:1]
	v_add_u16_e32 v5, v6, v5
	v_add_u16_e32 v3, v3, v7
	;; [unrolled: 1-line block ×3, first 2 shown]
	v_add_u16_sdwa v6, v2, v8 dst_sel:DWORD dst_unused:UNUSED_PAD src0_sel:WORD_1 src1_sel:DWORD
	v_lshlrev_b16_e32 v2, 8, v5
	v_lshlrev_b16_e32 v7, 8, v3
	v_or_b32_sdwa v2, v4, v2 dst_sel:DWORD dst_unused:UNUSED_PAD src0_sel:BYTE_0 src1_sel:DWORD
	v_or_b32_sdwa v7, v6, v7 dst_sel:WORD_1 dst_unused:UNUSED_PAD src0_sel:BYTE_0 src1_sel:DWORD
	s_add_i32 s5, s5, -1
	v_or_b32_sdwa v2, v2, v7 dst_sel:DWORD dst_unused:UNUSED_PAD src0_sel:WORD_0 src1_sel:DWORD
	s_cmp_lg_u32 s5, 0
	s_barrier
	s_cbranch_scc0 .LBB18_4
.LBB18_2:                               ; =>This Inner Loop Header: Depth=1
	v_lshrrev_b32_e32 v3, 24, v2
	v_mov_b32_e32 v4, 0x7b
	ds_write_b8 v0, v3
	s_waitcnt lgkmcnt(0)
	s_barrier
	s_and_saveexec_b64 s[0:1], vcc
	s_cbranch_execz .LBB18_1
; %bb.3:                                ;   in Loop: Header=BB18_2 Depth=1
	ds_read_u8 v4, v1
	s_branch .LBB18_1
.LBB18_4:
	s_add_u32 s0, s2, s4
	s_addc_u32 s1, s3, 0
	v_mov_b32_e32 v1, s1
	v_add_co_u32_e32 v0, vcc, s0, v0
	v_addc_co_u32_e32 v1, vcc, 0, v1, vcc
	global_store_byte v[0:1], v4, off
	global_store_byte v[0:1], v5, off offset:256
	global_store_byte v[0:1], v6, off offset:512
	;; [unrolled: 1-line block ×3, first 2 shown]
	s_endpgm
	.section	.rodata,"a",@progbits
	.p2align	6, 0x0
	.amdhsa_kernel _Z6kernelI10flag_headsaLj256ELj4ELb1ELj100EEvPKT0_PS1_
		.amdhsa_group_segment_fixed_size 512
		.amdhsa_private_segment_fixed_size 0
		.amdhsa_kernarg_size 16
		.amdhsa_user_sgpr_count 6
		.amdhsa_user_sgpr_private_segment_buffer 1
		.amdhsa_user_sgpr_dispatch_ptr 0
		.amdhsa_user_sgpr_queue_ptr 0
		.amdhsa_user_sgpr_kernarg_segment_ptr 1
		.amdhsa_user_sgpr_dispatch_id 0
		.amdhsa_user_sgpr_flat_scratch_init 0
		.amdhsa_user_sgpr_private_segment_size 0
		.amdhsa_uses_dynamic_stack 0
		.amdhsa_system_sgpr_private_segment_wavefront_offset 0
		.amdhsa_system_sgpr_workgroup_id_x 1
		.amdhsa_system_sgpr_workgroup_id_y 0
		.amdhsa_system_sgpr_workgroup_id_z 0
		.amdhsa_system_sgpr_workgroup_info 0
		.amdhsa_system_vgpr_workitem_id 0
		.amdhsa_next_free_vgpr 9
		.amdhsa_next_free_sgpr 7
		.amdhsa_reserve_vcc 1
		.amdhsa_reserve_flat_scratch 0
		.amdhsa_float_round_mode_32 0
		.amdhsa_float_round_mode_16_64 0
		.amdhsa_float_denorm_mode_32 3
		.amdhsa_float_denorm_mode_16_64 3
		.amdhsa_dx10_clamp 1
		.amdhsa_ieee_mode 1
		.amdhsa_fp16_overflow 0
		.amdhsa_exception_fp_ieee_invalid_op 0
		.amdhsa_exception_fp_denorm_src 0
		.amdhsa_exception_fp_ieee_div_zero 0
		.amdhsa_exception_fp_ieee_overflow 0
		.amdhsa_exception_fp_ieee_underflow 0
		.amdhsa_exception_fp_ieee_inexact 0
		.amdhsa_exception_int_div_zero 0
	.end_amdhsa_kernel
	.section	.text._Z6kernelI10flag_headsaLj256ELj4ELb1ELj100EEvPKT0_PS1_,"axG",@progbits,_Z6kernelI10flag_headsaLj256ELj4ELb1ELj100EEvPKT0_PS1_,comdat
.Lfunc_end18:
	.size	_Z6kernelI10flag_headsaLj256ELj4ELb1ELj100EEvPKT0_PS1_, .Lfunc_end18-_Z6kernelI10flag_headsaLj256ELj4ELb1ELj100EEvPKT0_PS1_
                                        ; -- End function
	.set _Z6kernelI10flag_headsaLj256ELj4ELb1ELj100EEvPKT0_PS1_.num_vgpr, 9
	.set _Z6kernelI10flag_headsaLj256ELj4ELb1ELj100EEvPKT0_PS1_.num_agpr, 0
	.set _Z6kernelI10flag_headsaLj256ELj4ELb1ELj100EEvPKT0_PS1_.numbered_sgpr, 7
	.set _Z6kernelI10flag_headsaLj256ELj4ELb1ELj100EEvPKT0_PS1_.num_named_barrier, 0
	.set _Z6kernelI10flag_headsaLj256ELj4ELb1ELj100EEvPKT0_PS1_.private_seg_size, 0
	.set _Z6kernelI10flag_headsaLj256ELj4ELb1ELj100EEvPKT0_PS1_.uses_vcc, 1
	.set _Z6kernelI10flag_headsaLj256ELj4ELb1ELj100EEvPKT0_PS1_.uses_flat_scratch, 0
	.set _Z6kernelI10flag_headsaLj256ELj4ELb1ELj100EEvPKT0_PS1_.has_dyn_sized_stack, 0
	.set _Z6kernelI10flag_headsaLj256ELj4ELb1ELj100EEvPKT0_PS1_.has_recursion, 0
	.set _Z6kernelI10flag_headsaLj256ELj4ELb1ELj100EEvPKT0_PS1_.has_indirect_call, 0
	.section	.AMDGPU.csdata,"",@progbits
; Kernel info:
; codeLenInByte = 372
; TotalNumSgprs: 11
; NumVgprs: 9
; ScratchSize: 0
; MemoryBound: 0
; FloatMode: 240
; IeeeMode: 1
; LDSByteSize: 512 bytes/workgroup (compile time only)
; SGPRBlocks: 1
; VGPRBlocks: 2
; NumSGPRsForWavesPerEU: 11
; NumVGPRsForWavesPerEU: 9
; Occupancy: 10
; WaveLimiterHint : 1
; COMPUTE_PGM_RSRC2:SCRATCH_EN: 0
; COMPUTE_PGM_RSRC2:USER_SGPR: 6
; COMPUTE_PGM_RSRC2:TRAP_HANDLER: 0
; COMPUTE_PGM_RSRC2:TGID_X_EN: 1
; COMPUTE_PGM_RSRC2:TGID_Y_EN: 0
; COMPUTE_PGM_RSRC2:TGID_Z_EN: 0
; COMPUTE_PGM_RSRC2:TIDIG_COMP_CNT: 0
	.section	.text._Z6kernelI10flag_headsaLj256ELj8ELb1ELj100EEvPKT0_PS1_,"axG",@progbits,_Z6kernelI10flag_headsaLj256ELj8ELb1ELj100EEvPKT0_PS1_,comdat
	.protected	_Z6kernelI10flag_headsaLj256ELj8ELb1ELj100EEvPKT0_PS1_ ; -- Begin function _Z6kernelI10flag_headsaLj256ELj8ELb1ELj100EEvPKT0_PS1_
	.globl	_Z6kernelI10flag_headsaLj256ELj8ELb1ELj100EEvPKT0_PS1_
	.p2align	8
	.type	_Z6kernelI10flag_headsaLj256ELj8ELb1ELj100EEvPKT0_PS1_,@function
_Z6kernelI10flag_headsaLj256ELj8ELb1ELj100EEvPKT0_PS1_: ; @_Z6kernelI10flag_headsaLj256ELj8ELb1ELj100EEvPKT0_PS1_
; %bb.0:
	s_load_dwordx4 s[0:3], s[4:5], 0x0
	s_lshl_b32 s4, s6, 11
	s_movk_i32 s5, 0x64
	v_cmp_ne_u32_e32 vcc, 0, v0
	v_add_u32_e32 v3, -1, v0
	s_waitcnt lgkmcnt(0)
	s_add_u32 s0, s0, s4
	s_addc_u32 s1, s1, 0
	global_load_ubyte v1, v0, s[0:1] offset:256
	global_load_ubyte v2, v0, s[0:1] offset:1536
	;; [unrolled: 1-line block ×4, first 2 shown]
	global_load_ubyte v6, v0, s[0:1]
	global_load_ubyte v7, v0, s[0:1] offset:768
	global_load_ubyte v8, v0, s[0:1] offset:1280
	;; [unrolled: 1-line block ×3, first 2 shown]
	s_mov_b32 s0, 0xc0c0004
	s_movk_i32 s6, 0xff
	s_waitcnt vmcnt(3)
	v_perm_b32 v1, v6, v1, s0
	s_waitcnt vmcnt(2)
	v_perm_b32 v5, v5, v7, s0
	;; [unrolled: 2-line block ×4, first 2 shown]
	v_lshl_or_b32 v1, v5, 16, v1
	v_lshl_or_b32 v2, v2, 16, v4
	s_branch .LBB19_2
.LBB19_1:                               ;   in Loop: Header=BB19_2 Depth=1
	s_or_b64 exec, exec, s[0:1]
	v_lshrrev_b64 v[8:9], 24, v[1:2]
	v_and_b32_sdwa v9, v2, s6 dst_sel:DWORD dst_unused:UNUSED_PAD src0_sel:WORD_1 src1_sel:DWORD
	v_lshrrev_b32_e32 v10, 8, v2
	v_cmp_eq_u16_e64 s[0:1], v9, v4
	v_cndmask_b32_e64 v12, 0, 1, s[0:1]
	v_cmp_eq_u16_sdwa s[0:1], v10, v9 src0_sel:BYTE_0 src1_sel:DWORD
	v_cndmask_b32_e64 v11, 0, 1, s[0:1]
	v_cmp_eq_u16_sdwa s[0:1], v2, v10 src0_sel:BYTE_0 src1_sel:BYTE_0
	v_and_b32_sdwa v7, v1, s6 dst_sel:DWORD dst_unused:UNUSED_PAD src0_sel:WORD_1 src1_sel:DWORD
	v_cndmask_b32_e64 v13, 0, 1, s[0:1]
	v_cmp_eq_u16_sdwa s[0:1], v8, v2 src0_sel:BYTE_0 src1_sel:BYTE_0
	v_lshrrev_b32_e32 v6, 8, v1
	v_cndmask_b32_e64 v9, 0, 1, s[0:1]
	v_cmp_eq_u16_sdwa s[0:1], v7, v8 src0_sel:DWORD src1_sel:BYTE_0
	v_cndmask_b32_e64 v14, 0, 1, s[0:1]
	v_cmp_eq_u16_sdwa s[0:1], v6, v7 src0_sel:BYTE_0 src1_sel:DWORD
	v_cndmask_b32_e64 v7, 0, 1, s[0:1]
	v_cmp_eq_u16_sdwa s[0:1], v1, v6 src0_sel:BYTE_0 src1_sel:BYTE_0
	v_cndmask_b32_e64 v15, 0, 1, s[0:1]
	s_waitcnt lgkmcnt(0)
	v_cmp_eq_u16_sdwa s[0:1], v5, v1 src0_sel:BYTE_0 src1_sel:BYTE_0
	v_cndmask_b32_e64 v5, 0, 1, s[0:1]
	v_add_u16_e32 v6, v6, v15
	v_add_u16_e32 v8, v8, v14
	;; [unrolled: 1-line block ×3, first 2 shown]
	v_add_u16_sdwa v7, v1, v7 dst_sel:DWORD dst_unused:UNUSED_PAD src0_sel:WORD_1 src1_sel:DWORD
	v_add_u16_e32 v9, v2, v9
	v_add_u16_sdwa v11, v2, v11 dst_sel:DWORD dst_unused:UNUSED_PAD src0_sel:WORD_1 src1_sel:DWORD
	v_lshlrev_b16_e32 v1, 8, v6
	v_lshlrev_b16_e32 v2, 8, v8
	v_add_u16_e32 v10, v10, v13
	v_add_u16_e32 v4, v4, v12
	v_or_b32_sdwa v1, v5, v1 dst_sel:DWORD dst_unused:UNUSED_PAD src0_sel:BYTE_0 src1_sel:DWORD
	v_or_b32_sdwa v2, v7, v2 dst_sel:WORD_1 dst_unused:UNUSED_PAD src0_sel:BYTE_0 src1_sel:DWORD
	v_or_b32_sdwa v1, v1, v2 dst_sel:DWORD dst_unused:UNUSED_PAD src0_sel:WORD_0 src1_sel:DWORD
	v_lshlrev_b16_e32 v2, 8, v10
	v_lshlrev_b16_e32 v12, 8, v4
	v_or_b32_sdwa v2, v9, v2 dst_sel:DWORD dst_unused:UNUSED_PAD src0_sel:BYTE_0 src1_sel:DWORD
	v_or_b32_sdwa v12, v11, v12 dst_sel:WORD_1 dst_unused:UNUSED_PAD src0_sel:BYTE_0 src1_sel:DWORD
	s_add_i32 s5, s5, -1
	s_cmp_lg_u32 s5, 0
	v_or_b32_sdwa v2, v2, v12 dst_sel:DWORD dst_unused:UNUSED_PAD src0_sel:WORD_0 src1_sel:DWORD
	s_barrier
	s_cbranch_scc0 .LBB19_4
.LBB19_2:                               ; =>This Inner Loop Header: Depth=1
	v_lshrrev_b32_e32 v4, 24, v2
	v_mov_b32_e32 v5, 0x7b
	ds_write_b8 v0, v4
	s_waitcnt lgkmcnt(0)
	s_barrier
	s_and_saveexec_b64 s[0:1], vcc
	s_cbranch_execz .LBB19_1
; %bb.3:                                ;   in Loop: Header=BB19_2 Depth=1
	ds_read_u8 v5, v3
	s_branch .LBB19_1
.LBB19_4:
	s_add_u32 s0, s2, s4
	s_addc_u32 s1, s3, 0
	v_mov_b32_e32 v1, s1
	v_add_co_u32_e32 v0, vcc, s0, v0
	v_addc_co_u32_e32 v1, vcc, 0, v1, vcc
	global_store_byte v[0:1], v5, off
	global_store_byte v[0:1], v6, off offset:256
	global_store_byte v[0:1], v7, off offset:512
	;; [unrolled: 1-line block ×7, first 2 shown]
	s_endpgm
	.section	.rodata,"a",@progbits
	.p2align	6, 0x0
	.amdhsa_kernel _Z6kernelI10flag_headsaLj256ELj8ELb1ELj100EEvPKT0_PS1_
		.amdhsa_group_segment_fixed_size 512
		.amdhsa_private_segment_fixed_size 0
		.amdhsa_kernarg_size 16
		.amdhsa_user_sgpr_count 6
		.amdhsa_user_sgpr_private_segment_buffer 1
		.amdhsa_user_sgpr_dispatch_ptr 0
		.amdhsa_user_sgpr_queue_ptr 0
		.amdhsa_user_sgpr_kernarg_segment_ptr 1
		.amdhsa_user_sgpr_dispatch_id 0
		.amdhsa_user_sgpr_flat_scratch_init 0
		.amdhsa_user_sgpr_private_segment_size 0
		.amdhsa_uses_dynamic_stack 0
		.amdhsa_system_sgpr_private_segment_wavefront_offset 0
		.amdhsa_system_sgpr_workgroup_id_x 1
		.amdhsa_system_sgpr_workgroup_id_y 0
		.amdhsa_system_sgpr_workgroup_id_z 0
		.amdhsa_system_sgpr_workgroup_info 0
		.amdhsa_system_vgpr_workitem_id 0
		.amdhsa_next_free_vgpr 16
		.amdhsa_next_free_sgpr 7
		.amdhsa_reserve_vcc 1
		.amdhsa_reserve_flat_scratch 0
		.amdhsa_float_round_mode_32 0
		.amdhsa_float_round_mode_16_64 0
		.amdhsa_float_denorm_mode_32 3
		.amdhsa_float_denorm_mode_16_64 3
		.amdhsa_dx10_clamp 1
		.amdhsa_ieee_mode 1
		.amdhsa_fp16_overflow 0
		.amdhsa_exception_fp_ieee_invalid_op 0
		.amdhsa_exception_fp_denorm_src 0
		.amdhsa_exception_fp_ieee_div_zero 0
		.amdhsa_exception_fp_ieee_overflow 0
		.amdhsa_exception_fp_ieee_underflow 0
		.amdhsa_exception_fp_ieee_inexact 0
		.amdhsa_exception_int_div_zero 0
	.end_amdhsa_kernel
	.section	.text._Z6kernelI10flag_headsaLj256ELj8ELb1ELj100EEvPKT0_PS1_,"axG",@progbits,_Z6kernelI10flag_headsaLj256ELj8ELb1ELj100EEvPKT0_PS1_,comdat
.Lfunc_end19:
	.size	_Z6kernelI10flag_headsaLj256ELj8ELb1ELj100EEvPKT0_PS1_, .Lfunc_end19-_Z6kernelI10flag_headsaLj256ELj8ELb1ELj100EEvPKT0_PS1_
                                        ; -- End function
	.set _Z6kernelI10flag_headsaLj256ELj8ELb1ELj100EEvPKT0_PS1_.num_vgpr, 16
	.set _Z6kernelI10flag_headsaLj256ELj8ELb1ELj100EEvPKT0_PS1_.num_agpr, 0
	.set _Z6kernelI10flag_headsaLj256ELj8ELb1ELj100EEvPKT0_PS1_.numbered_sgpr, 7
	.set _Z6kernelI10flag_headsaLj256ELj8ELb1ELj100EEvPKT0_PS1_.num_named_barrier, 0
	.set _Z6kernelI10flag_headsaLj256ELj8ELb1ELj100EEvPKT0_PS1_.private_seg_size, 0
	.set _Z6kernelI10flag_headsaLj256ELj8ELb1ELj100EEvPKT0_PS1_.uses_vcc, 1
	.set _Z6kernelI10flag_headsaLj256ELj8ELb1ELj100EEvPKT0_PS1_.uses_flat_scratch, 0
	.set _Z6kernelI10flag_headsaLj256ELj8ELb1ELj100EEvPKT0_PS1_.has_dyn_sized_stack, 0
	.set _Z6kernelI10flag_headsaLj256ELj8ELb1ELj100EEvPKT0_PS1_.has_recursion, 0
	.set _Z6kernelI10flag_headsaLj256ELj8ELb1ELj100EEvPKT0_PS1_.has_indirect_call, 0
	.section	.AMDGPU.csdata,"",@progbits
; Kernel info:
; codeLenInByte = 604
; TotalNumSgprs: 11
; NumVgprs: 16
; ScratchSize: 0
; MemoryBound: 0
; FloatMode: 240
; IeeeMode: 1
; LDSByteSize: 512 bytes/workgroup (compile time only)
; SGPRBlocks: 1
; VGPRBlocks: 3
; NumSGPRsForWavesPerEU: 11
; NumVGPRsForWavesPerEU: 16
; Occupancy: 10
; WaveLimiterHint : 1
; COMPUTE_PGM_RSRC2:SCRATCH_EN: 0
; COMPUTE_PGM_RSRC2:USER_SGPR: 6
; COMPUTE_PGM_RSRC2:TRAP_HANDLER: 0
; COMPUTE_PGM_RSRC2:TGID_X_EN: 1
; COMPUTE_PGM_RSRC2:TGID_Y_EN: 0
; COMPUTE_PGM_RSRC2:TGID_Z_EN: 0
; COMPUTE_PGM_RSRC2:TIDIG_COMP_CNT: 0
	.section	.text._Z6kernelI10flag_headshLj256ELj1ELb0ELj100EEvPKT0_PS1_,"axG",@progbits,_Z6kernelI10flag_headshLj256ELj1ELb0ELj100EEvPKT0_PS1_,comdat
	.protected	_Z6kernelI10flag_headshLj256ELj1ELb0ELj100EEvPKT0_PS1_ ; -- Begin function _Z6kernelI10flag_headshLj256ELj1ELb0ELj100EEvPKT0_PS1_
	.globl	_Z6kernelI10flag_headshLj256ELj1ELb0ELj100EEvPKT0_PS1_
	.p2align	8
	.type	_Z6kernelI10flag_headshLj256ELj1ELb0ELj100EEvPKT0_PS1_,@function
_Z6kernelI10flag_headshLj256ELj1ELb0ELj100EEvPKT0_PS1_: ; @_Z6kernelI10flag_headshLj256ELj1ELb0ELj100EEvPKT0_PS1_
; %bb.0:
	s_load_dwordx4 s[0:3], s[4:5], 0x0
	s_lshl_b32 s4, s6, 8
	v_cmp_ne_u32_e32 vcc, 0, v0
	v_add_u32_e32 v2, -1, v0
	s_movk_i32 s5, 0x64
	s_waitcnt lgkmcnt(0)
	s_add_u32 s0, s0, s4
	s_addc_u32 s1, s1, 0
	global_load_ubyte v1, v0, s[0:1]
	s_branch .LBB20_2
.LBB20_1:                               ;   in Loop: Header=BB20_2 Depth=1
	s_or_b64 exec, exec, s[0:1]
	s_add_i32 s5, s5, -1
	v_add_u16_e32 v1, v3, v1
	s_cmp_lg_u32 s5, 0
	s_barrier
	s_cbranch_scc0 .LBB20_4
.LBB20_2:                               ; =>This Inner Loop Header: Depth=1
	v_mov_b32_e32 v3, 1
	s_waitcnt vmcnt(0)
	ds_write_b8 v0, v1
	s_waitcnt lgkmcnt(0)
	s_barrier
	s_and_saveexec_b64 s[0:1], vcc
	s_cbranch_execz .LBB20_1
; %bb.3:                                ;   in Loop: Header=BB20_2 Depth=1
	ds_read_u8 v3, v2
	s_waitcnt lgkmcnt(0)
	v_cmp_eq_u16_sdwa s[6:7], v3, v1 src0_sel:DWORD src1_sel:BYTE_0
	v_cndmask_b32_e64 v3, 0, 1, s[6:7]
	s_branch .LBB20_1
.LBB20_4:
	s_add_u32 s0, s2, s4
	s_addc_u32 s1, s3, 0
	v_mov_b32_e32 v3, s1
	v_add_co_u32_e32 v2, vcc, s0, v0
	v_addc_co_u32_e32 v3, vcc, 0, v3, vcc
	global_store_byte v[2:3], v1, off
	s_endpgm
	.section	.rodata,"a",@progbits
	.p2align	6, 0x0
	.amdhsa_kernel _Z6kernelI10flag_headshLj256ELj1ELb0ELj100EEvPKT0_PS1_
		.amdhsa_group_segment_fixed_size 512
		.amdhsa_private_segment_fixed_size 0
		.amdhsa_kernarg_size 16
		.amdhsa_user_sgpr_count 6
		.amdhsa_user_sgpr_private_segment_buffer 1
		.amdhsa_user_sgpr_dispatch_ptr 0
		.amdhsa_user_sgpr_queue_ptr 0
		.amdhsa_user_sgpr_kernarg_segment_ptr 1
		.amdhsa_user_sgpr_dispatch_id 0
		.amdhsa_user_sgpr_flat_scratch_init 0
		.amdhsa_user_sgpr_private_segment_size 0
		.amdhsa_uses_dynamic_stack 0
		.amdhsa_system_sgpr_private_segment_wavefront_offset 0
		.amdhsa_system_sgpr_workgroup_id_x 1
		.amdhsa_system_sgpr_workgroup_id_y 0
		.amdhsa_system_sgpr_workgroup_id_z 0
		.amdhsa_system_sgpr_workgroup_info 0
		.amdhsa_system_vgpr_workitem_id 0
		.amdhsa_next_free_vgpr 4
		.amdhsa_next_free_sgpr 8
		.amdhsa_reserve_vcc 1
		.amdhsa_reserve_flat_scratch 0
		.amdhsa_float_round_mode_32 0
		.amdhsa_float_round_mode_16_64 0
		.amdhsa_float_denorm_mode_32 3
		.amdhsa_float_denorm_mode_16_64 3
		.amdhsa_dx10_clamp 1
		.amdhsa_ieee_mode 1
		.amdhsa_fp16_overflow 0
		.amdhsa_exception_fp_ieee_invalid_op 0
		.amdhsa_exception_fp_denorm_src 0
		.amdhsa_exception_fp_ieee_div_zero 0
		.amdhsa_exception_fp_ieee_overflow 0
		.amdhsa_exception_fp_ieee_underflow 0
		.amdhsa_exception_fp_ieee_inexact 0
		.amdhsa_exception_int_div_zero 0
	.end_amdhsa_kernel
	.section	.text._Z6kernelI10flag_headshLj256ELj1ELb0ELj100EEvPKT0_PS1_,"axG",@progbits,_Z6kernelI10flag_headshLj256ELj1ELb0ELj100EEvPKT0_PS1_,comdat
.Lfunc_end20:
	.size	_Z6kernelI10flag_headshLj256ELj1ELb0ELj100EEvPKT0_PS1_, .Lfunc_end20-_Z6kernelI10flag_headshLj256ELj1ELb0ELj100EEvPKT0_PS1_
                                        ; -- End function
	.set _Z6kernelI10flag_headshLj256ELj1ELb0ELj100EEvPKT0_PS1_.num_vgpr, 4
	.set _Z6kernelI10flag_headshLj256ELj1ELb0ELj100EEvPKT0_PS1_.num_agpr, 0
	.set _Z6kernelI10flag_headshLj256ELj1ELb0ELj100EEvPKT0_PS1_.numbered_sgpr, 8
	.set _Z6kernelI10flag_headshLj256ELj1ELb0ELj100EEvPKT0_PS1_.num_named_barrier, 0
	.set _Z6kernelI10flag_headshLj256ELj1ELb0ELj100EEvPKT0_PS1_.private_seg_size, 0
	.set _Z6kernelI10flag_headshLj256ELj1ELb0ELj100EEvPKT0_PS1_.uses_vcc, 1
	.set _Z6kernelI10flag_headshLj256ELj1ELb0ELj100EEvPKT0_PS1_.uses_flat_scratch, 0
	.set _Z6kernelI10flag_headshLj256ELj1ELb0ELj100EEvPKT0_PS1_.has_dyn_sized_stack, 0
	.set _Z6kernelI10flag_headshLj256ELj1ELb0ELj100EEvPKT0_PS1_.has_recursion, 0
	.set _Z6kernelI10flag_headshLj256ELj1ELb0ELj100EEvPKT0_PS1_.has_indirect_call, 0
	.section	.AMDGPU.csdata,"",@progbits
; Kernel info:
; codeLenInByte = 168
; TotalNumSgprs: 12
; NumVgprs: 4
; ScratchSize: 0
; MemoryBound: 0
; FloatMode: 240
; IeeeMode: 1
; LDSByteSize: 512 bytes/workgroup (compile time only)
; SGPRBlocks: 1
; VGPRBlocks: 0
; NumSGPRsForWavesPerEU: 12
; NumVGPRsForWavesPerEU: 4
; Occupancy: 10
; WaveLimiterHint : 0
; COMPUTE_PGM_RSRC2:SCRATCH_EN: 0
; COMPUTE_PGM_RSRC2:USER_SGPR: 6
; COMPUTE_PGM_RSRC2:TRAP_HANDLER: 0
; COMPUTE_PGM_RSRC2:TGID_X_EN: 1
; COMPUTE_PGM_RSRC2:TGID_Y_EN: 0
; COMPUTE_PGM_RSRC2:TGID_Z_EN: 0
; COMPUTE_PGM_RSRC2:TIDIG_COMP_CNT: 0
	.section	.text._Z6kernelI10flag_headshLj256ELj2ELb0ELj100EEvPKT0_PS1_,"axG",@progbits,_Z6kernelI10flag_headshLj256ELj2ELb0ELj100EEvPKT0_PS1_,comdat
	.protected	_Z6kernelI10flag_headshLj256ELj2ELb0ELj100EEvPKT0_PS1_ ; -- Begin function _Z6kernelI10flag_headshLj256ELj2ELb0ELj100EEvPKT0_PS1_
	.globl	_Z6kernelI10flag_headshLj256ELj2ELb0ELj100EEvPKT0_PS1_
	.p2align	8
	.type	_Z6kernelI10flag_headshLj256ELj2ELb0ELj100EEvPKT0_PS1_,@function
_Z6kernelI10flag_headshLj256ELj2ELb0ELj100EEvPKT0_PS1_: ; @_Z6kernelI10flag_headshLj256ELj2ELb0ELj100EEvPKT0_PS1_
; %bb.0:
	s_load_dwordx4 s[0:3], s[4:5], 0x0
	s_lshl_b32 s6, s6, 9
	v_cmp_ne_u32_e32 vcc, 0, v0
	v_add_u32_e32 v2, -1, v0
	s_movk_i32 s7, 0x64
	s_waitcnt lgkmcnt(0)
	s_add_u32 s0, s0, s6
	s_addc_u32 s1, s1, 0
	global_load_ubyte v1, v0, s[0:1] offset:256
	global_load_ubyte v3, v0, s[0:1]
	s_mov_b32 s0, 0xc0c0004
	s_waitcnt vmcnt(0)
	v_perm_b32 v1, v3, v1, s0
	s_branch .LBB21_2
.LBB21_1:                               ;   in Loop: Header=BB21_2 Depth=1
	s_or_b64 exec, exec, s[4:5]
	v_cndmask_b32_e64 v5, 0, 1, s[0:1]
	v_add_u16_e32 v1, v4, v1
	v_add_u16_sdwa v3, v5, v3 dst_sel:BYTE_1 dst_unused:UNUSED_PAD src0_sel:DWORD src1_sel:DWORD
	v_or_b32_sdwa v1, v1, v3 dst_sel:DWORD dst_unused:UNUSED_PAD src0_sel:BYTE_0 src1_sel:DWORD
	s_add_i32 s7, s7, -1
	v_and_b32_e32 v1, 0xffff, v1
	s_cmp_lg_u32 s7, 0
	s_barrier
	s_cbranch_scc0 .LBB21_4
.LBB21_2:                               ; =>This Inner Loop Header: Depth=1
	v_lshrrev_b16_e32 v3, 8, v1
	v_cmp_eq_u16_sdwa s[0:1], v1, v3 src0_sel:BYTE_0 src1_sel:DWORD
	v_mov_b32_e32 v4, 1
	ds_write_b8 v0, v3
	s_waitcnt lgkmcnt(0)
	s_barrier
	s_and_saveexec_b64 s[4:5], vcc
	s_cbranch_execz .LBB21_1
; %bb.3:                                ;   in Loop: Header=BB21_2 Depth=1
	ds_read_u8 v4, v2
	s_waitcnt lgkmcnt(0)
	v_cmp_eq_u16_sdwa s[8:9], v4, v1 src0_sel:DWORD src1_sel:BYTE_0
	v_cndmask_b32_e64 v4, 0, 1, s[8:9]
	s_branch .LBB21_1
.LBB21_4:
	s_add_u32 s0, s2, s6
	s_addc_u32 s1, s3, 0
	v_mov_b32_e32 v3, s1
	v_add_co_u32_e32 v2, vcc, s0, v0
	v_addc_co_u32_e32 v3, vcc, 0, v3, vcc
	v_lshrrev_b16_e32 v0, 8, v1
	global_store_byte v[2:3], v1, off
	global_store_byte v[2:3], v0, off offset:256
	s_endpgm
	.section	.rodata,"a",@progbits
	.p2align	6, 0x0
	.amdhsa_kernel _Z6kernelI10flag_headshLj256ELj2ELb0ELj100EEvPKT0_PS1_
		.amdhsa_group_segment_fixed_size 512
		.amdhsa_private_segment_fixed_size 0
		.amdhsa_kernarg_size 16
		.amdhsa_user_sgpr_count 6
		.amdhsa_user_sgpr_private_segment_buffer 1
		.amdhsa_user_sgpr_dispatch_ptr 0
		.amdhsa_user_sgpr_queue_ptr 0
		.amdhsa_user_sgpr_kernarg_segment_ptr 1
		.amdhsa_user_sgpr_dispatch_id 0
		.amdhsa_user_sgpr_flat_scratch_init 0
		.amdhsa_user_sgpr_private_segment_size 0
		.amdhsa_uses_dynamic_stack 0
		.amdhsa_system_sgpr_private_segment_wavefront_offset 0
		.amdhsa_system_sgpr_workgroup_id_x 1
		.amdhsa_system_sgpr_workgroup_id_y 0
		.amdhsa_system_sgpr_workgroup_id_z 0
		.amdhsa_system_sgpr_workgroup_info 0
		.amdhsa_system_vgpr_workitem_id 0
		.amdhsa_next_free_vgpr 6
		.amdhsa_next_free_sgpr 10
		.amdhsa_reserve_vcc 1
		.amdhsa_reserve_flat_scratch 0
		.amdhsa_float_round_mode_32 0
		.amdhsa_float_round_mode_16_64 0
		.amdhsa_float_denorm_mode_32 3
		.amdhsa_float_denorm_mode_16_64 3
		.amdhsa_dx10_clamp 1
		.amdhsa_ieee_mode 1
		.amdhsa_fp16_overflow 0
		.amdhsa_exception_fp_ieee_invalid_op 0
		.amdhsa_exception_fp_denorm_src 0
		.amdhsa_exception_fp_ieee_div_zero 0
		.amdhsa_exception_fp_ieee_overflow 0
		.amdhsa_exception_fp_ieee_underflow 0
		.amdhsa_exception_fp_ieee_inexact 0
		.amdhsa_exception_int_div_zero 0
	.end_amdhsa_kernel
	.section	.text._Z6kernelI10flag_headshLj256ELj2ELb0ELj100EEvPKT0_PS1_,"axG",@progbits,_Z6kernelI10flag_headshLj256ELj2ELb0ELj100EEvPKT0_PS1_,comdat
.Lfunc_end21:
	.size	_Z6kernelI10flag_headshLj256ELj2ELb0ELj100EEvPKT0_PS1_, .Lfunc_end21-_Z6kernelI10flag_headshLj256ELj2ELb0ELj100EEvPKT0_PS1_
                                        ; -- End function
	.set _Z6kernelI10flag_headshLj256ELj2ELb0ELj100EEvPKT0_PS1_.num_vgpr, 6
	.set _Z6kernelI10flag_headshLj256ELj2ELb0ELj100EEvPKT0_PS1_.num_agpr, 0
	.set _Z6kernelI10flag_headshLj256ELj2ELb0ELj100EEvPKT0_PS1_.numbered_sgpr, 10
	.set _Z6kernelI10flag_headshLj256ELj2ELb0ELj100EEvPKT0_PS1_.num_named_barrier, 0
	.set _Z6kernelI10flag_headshLj256ELj2ELb0ELj100EEvPKT0_PS1_.private_seg_size, 0
	.set _Z6kernelI10flag_headshLj256ELj2ELb0ELj100EEvPKT0_PS1_.uses_vcc, 1
	.set _Z6kernelI10flag_headshLj256ELj2ELb0ELj100EEvPKT0_PS1_.uses_flat_scratch, 0
	.set _Z6kernelI10flag_headshLj256ELj2ELb0ELj100EEvPKT0_PS1_.has_dyn_sized_stack, 0
	.set _Z6kernelI10flag_headshLj256ELj2ELb0ELj100EEvPKT0_PS1_.has_recursion, 0
	.set _Z6kernelI10flag_headshLj256ELj2ELb0ELj100EEvPKT0_PS1_.has_indirect_call, 0
	.section	.AMDGPU.csdata,"",@progbits
; Kernel info:
; codeLenInByte = 248
; TotalNumSgprs: 14
; NumVgprs: 6
; ScratchSize: 0
; MemoryBound: 0
; FloatMode: 240
; IeeeMode: 1
; LDSByteSize: 512 bytes/workgroup (compile time only)
; SGPRBlocks: 1
; VGPRBlocks: 1
; NumSGPRsForWavesPerEU: 14
; NumVGPRsForWavesPerEU: 6
; Occupancy: 10
; WaveLimiterHint : 1
; COMPUTE_PGM_RSRC2:SCRATCH_EN: 0
; COMPUTE_PGM_RSRC2:USER_SGPR: 6
; COMPUTE_PGM_RSRC2:TRAP_HANDLER: 0
; COMPUTE_PGM_RSRC2:TGID_X_EN: 1
; COMPUTE_PGM_RSRC2:TGID_Y_EN: 0
; COMPUTE_PGM_RSRC2:TGID_Z_EN: 0
; COMPUTE_PGM_RSRC2:TIDIG_COMP_CNT: 0
	.section	.text._Z6kernelI10flag_headshLj256ELj3ELb0ELj100EEvPKT0_PS1_,"axG",@progbits,_Z6kernelI10flag_headshLj256ELj3ELb0ELj100EEvPKT0_PS1_,comdat
	.protected	_Z6kernelI10flag_headshLj256ELj3ELb0ELj100EEvPKT0_PS1_ ; -- Begin function _Z6kernelI10flag_headshLj256ELj3ELb0ELj100EEvPKT0_PS1_
	.globl	_Z6kernelI10flag_headshLj256ELj3ELb0ELj100EEvPKT0_PS1_
	.p2align	8
	.type	_Z6kernelI10flag_headshLj256ELj3ELb0ELj100EEvPKT0_PS1_,@function
_Z6kernelI10flag_headshLj256ELj3ELb0ELj100EEvPKT0_PS1_: ; @_Z6kernelI10flag_headshLj256ELj3ELb0ELj100EEvPKT0_PS1_
; %bb.0:
	s_load_dwordx4 s[0:3], s[4:5], 0x0
	s_mul_i32 s8, s6, 0x300
	s_movk_i32 s9, 0x64
	v_cmp_ne_u32_e32 vcc, 0, v0
	v_add_u32_e32 v2, -1, v0
	s_waitcnt lgkmcnt(0)
	s_add_u32 s0, s0, s8
	s_addc_u32 s1, s1, 0
	global_load_ubyte v1, v0, s[0:1] offset:256
	global_load_ubyte v3, v0, s[0:1] offset:512
	global_load_ubyte v4, v0, s[0:1]
	s_mov_b32 s0, 0xc0c0004
	s_mov_b32 s10, 0xc0c0104
	s_waitcnt vmcnt(0)
	v_perm_b32 v1, v4, v1, s0
	v_lshl_or_b32 v1, v3, 16, v1
	s_branch .LBB22_2
.LBB22_1:                               ;   in Loop: Header=BB22_2 Depth=1
	s_or_b64 exec, exec, s[6:7]
	v_cndmask_b32_e64 v5, 0, 1, s[0:1]
	v_cndmask_b32_e64 v6, 0, 1, s[4:5]
	v_add_u16_e32 v3, v5, v3
	v_and_b32_e32 v5, 0xff, v3
	v_add_u16_sdwa v6, v6, v1 dst_sel:BYTE_1 dst_unused:UNUSED_PAD src0_sel:DWORD src1_sel:BYTE_1
	v_add_u16_e32 v1, v4, v1
	v_perm_b32 v1, v1, v6, s10
	v_lshlrev_b32_e32 v4, 16, v5
	s_add_i32 s9, s9, -1
	v_or_b32_e32 v1, v1, v4
	s_cmp_lg_u32 s9, 0
	s_barrier
	s_cbranch_scc0 .LBB22_4
.LBB22_2:                               ; =>This Inner Loop Header: Depth=1
	v_lshrrev_b32_e32 v3, 16, v1
	v_lshrrev_b32_e32 v4, 8, v1
	v_cmp_eq_u16_sdwa s[0:1], v4, v3 src0_sel:BYTE_0 src1_sel:BYTE_0
	v_cmp_eq_u16_sdwa s[4:5], v1, v4 src0_sel:BYTE_0 src1_sel:BYTE_0
	v_mov_b32_e32 v4, 1
	ds_write_b8 v0, v3
	s_waitcnt lgkmcnt(0)
	s_barrier
	s_and_saveexec_b64 s[6:7], vcc
	s_cbranch_execz .LBB22_1
; %bb.3:                                ;   in Loop: Header=BB22_2 Depth=1
	ds_read_u8 v4, v2
	s_waitcnt lgkmcnt(0)
	v_cmp_eq_u16_sdwa s[12:13], v4, v1 src0_sel:DWORD src1_sel:BYTE_0
	v_cndmask_b32_e64 v4, 0, 1, s[12:13]
	s_branch .LBB22_1
.LBB22_4:
	s_add_u32 s0, s2, s8
	s_addc_u32 s1, s3, 0
	v_mov_b32_e32 v2, s1
	v_add_co_u32_e32 v4, vcc, s0, v0
	v_addc_co_u32_e32 v5, vcc, 0, v2, vcc
	v_lshrrev_b32_e32 v0, 8, v1
	global_store_byte v[4:5], v1, off
	global_store_byte v[4:5], v0, off offset:256
	global_store_byte v[4:5], v3, off offset:512
	s_endpgm
	.section	.rodata,"a",@progbits
	.p2align	6, 0x0
	.amdhsa_kernel _Z6kernelI10flag_headshLj256ELj3ELb0ELj100EEvPKT0_PS1_
		.amdhsa_group_segment_fixed_size 512
		.amdhsa_private_segment_fixed_size 0
		.amdhsa_kernarg_size 16
		.amdhsa_user_sgpr_count 6
		.amdhsa_user_sgpr_private_segment_buffer 1
		.amdhsa_user_sgpr_dispatch_ptr 0
		.amdhsa_user_sgpr_queue_ptr 0
		.amdhsa_user_sgpr_kernarg_segment_ptr 1
		.amdhsa_user_sgpr_dispatch_id 0
		.amdhsa_user_sgpr_flat_scratch_init 0
		.amdhsa_user_sgpr_private_segment_size 0
		.amdhsa_uses_dynamic_stack 0
		.amdhsa_system_sgpr_private_segment_wavefront_offset 0
		.amdhsa_system_sgpr_workgroup_id_x 1
		.amdhsa_system_sgpr_workgroup_id_y 0
		.amdhsa_system_sgpr_workgroup_id_z 0
		.amdhsa_system_sgpr_workgroup_info 0
		.amdhsa_system_vgpr_workitem_id 0
		.amdhsa_next_free_vgpr 7
		.amdhsa_next_free_sgpr 14
		.amdhsa_reserve_vcc 1
		.amdhsa_reserve_flat_scratch 0
		.amdhsa_float_round_mode_32 0
		.amdhsa_float_round_mode_16_64 0
		.amdhsa_float_denorm_mode_32 3
		.amdhsa_float_denorm_mode_16_64 3
		.amdhsa_dx10_clamp 1
		.amdhsa_ieee_mode 1
		.amdhsa_fp16_overflow 0
		.amdhsa_exception_fp_ieee_invalid_op 0
		.amdhsa_exception_fp_denorm_src 0
		.amdhsa_exception_fp_ieee_div_zero 0
		.amdhsa_exception_fp_ieee_overflow 0
		.amdhsa_exception_fp_ieee_underflow 0
		.amdhsa_exception_fp_ieee_inexact 0
		.amdhsa_exception_int_div_zero 0
	.end_amdhsa_kernel
	.section	.text._Z6kernelI10flag_headshLj256ELj3ELb0ELj100EEvPKT0_PS1_,"axG",@progbits,_Z6kernelI10flag_headshLj256ELj3ELb0ELj100EEvPKT0_PS1_,comdat
.Lfunc_end22:
	.size	_Z6kernelI10flag_headshLj256ELj3ELb0ELj100EEvPKT0_PS1_, .Lfunc_end22-_Z6kernelI10flag_headshLj256ELj3ELb0ELj100EEvPKT0_PS1_
                                        ; -- End function
	.set _Z6kernelI10flag_headshLj256ELj3ELb0ELj100EEvPKT0_PS1_.num_vgpr, 7
	.set _Z6kernelI10flag_headshLj256ELj3ELb0ELj100EEvPKT0_PS1_.num_agpr, 0
	.set _Z6kernelI10flag_headshLj256ELj3ELb0ELj100EEvPKT0_PS1_.numbered_sgpr, 14
	.set _Z6kernelI10flag_headshLj256ELj3ELb0ELj100EEvPKT0_PS1_.num_named_barrier, 0
	.set _Z6kernelI10flag_headshLj256ELj3ELb0ELj100EEvPKT0_PS1_.private_seg_size, 0
	.set _Z6kernelI10flag_headshLj256ELj3ELb0ELj100EEvPKT0_PS1_.uses_vcc, 1
	.set _Z6kernelI10flag_headshLj256ELj3ELb0ELj100EEvPKT0_PS1_.uses_flat_scratch, 0
	.set _Z6kernelI10flag_headshLj256ELj3ELb0ELj100EEvPKT0_PS1_.has_dyn_sized_stack, 0
	.set _Z6kernelI10flag_headshLj256ELj3ELb0ELj100EEvPKT0_PS1_.has_recursion, 0
	.set _Z6kernelI10flag_headshLj256ELj3ELb0ELj100EEvPKT0_PS1_.has_indirect_call, 0
	.section	.AMDGPU.csdata,"",@progbits
; Kernel info:
; codeLenInByte = 316
; TotalNumSgprs: 18
; NumVgprs: 7
; ScratchSize: 0
; MemoryBound: 0
; FloatMode: 240
; IeeeMode: 1
; LDSByteSize: 512 bytes/workgroup (compile time only)
; SGPRBlocks: 2
; VGPRBlocks: 1
; NumSGPRsForWavesPerEU: 18
; NumVGPRsForWavesPerEU: 7
; Occupancy: 10
; WaveLimiterHint : 1
; COMPUTE_PGM_RSRC2:SCRATCH_EN: 0
; COMPUTE_PGM_RSRC2:USER_SGPR: 6
; COMPUTE_PGM_RSRC2:TRAP_HANDLER: 0
; COMPUTE_PGM_RSRC2:TGID_X_EN: 1
; COMPUTE_PGM_RSRC2:TGID_Y_EN: 0
; COMPUTE_PGM_RSRC2:TGID_Z_EN: 0
; COMPUTE_PGM_RSRC2:TIDIG_COMP_CNT: 0
	.section	.text._Z6kernelI10flag_headshLj256ELj4ELb0ELj100EEvPKT0_PS1_,"axG",@progbits,_Z6kernelI10flag_headshLj256ELj4ELb0ELj100EEvPKT0_PS1_,comdat
	.protected	_Z6kernelI10flag_headshLj256ELj4ELb0ELj100EEvPKT0_PS1_ ; -- Begin function _Z6kernelI10flag_headshLj256ELj4ELb0ELj100EEvPKT0_PS1_
	.globl	_Z6kernelI10flag_headshLj256ELj4ELb0ELj100EEvPKT0_PS1_
	.p2align	8
	.type	_Z6kernelI10flag_headshLj256ELj4ELb0ELj100EEvPKT0_PS1_,@function
_Z6kernelI10flag_headshLj256ELj4ELb0ELj100EEvPKT0_PS1_: ; @_Z6kernelI10flag_headshLj256ELj4ELb0ELj100EEvPKT0_PS1_
; %bb.0:
	s_load_dwordx4 s[0:3], s[4:5], 0x0
	s_lshl_b32 s10, s6, 10
	s_movk_i32 s11, 0x64
	v_cmp_ne_u32_e32 vcc, 0, v0
	v_add_u32_e32 v2, -1, v0
	s_waitcnt lgkmcnt(0)
	s_add_u32 s0, s0, s10
	s_addc_u32 s1, s1, 0
	global_load_ubyte v1, v0, s[0:1] offset:256
	global_load_ubyte v3, v0, s[0:1] offset:512
	global_load_ubyte v4, v0, s[0:1]
	global_load_ubyte v5, v0, s[0:1] offset:768
	s_mov_b32 s0, 0xc0c0004
	s_movk_i32 s12, 0xff
	s_waitcnt vmcnt(1)
	v_perm_b32 v1, v4, v1, s0
	s_waitcnt vmcnt(0)
	v_perm_b32 v3, v3, v5, s0
	v_lshl_or_b32 v1, v3, 16, v1
	s_branch .LBB23_2
.LBB23_1:                               ;   in Loop: Header=BB23_2 Depth=1
	s_or_b64 exec, exec, s[8:9]
	v_cndmask_b32_e64 v5, 0, 1, s[0:1]
	v_cndmask_b32_e64 v6, 0, 1, s[4:5]
	;; [unrolled: 1-line block ×3, first 2 shown]
	v_add_u16_e32 v4, v4, v1
	v_add_u16_sdwa v7, v7, v1 dst_sel:BYTE_1 dst_unused:UNUSED_PAD src0_sel:DWORD src1_sel:BYTE_1
	v_add_u16_sdwa v1, v6, v1 dst_sel:DWORD dst_unused:UNUSED_PAD src0_sel:DWORD src1_sel:WORD_1
	v_add_u16_sdwa v3, v5, v3 dst_sel:BYTE_1 dst_unused:UNUSED_PAD src0_sel:DWORD src1_sel:DWORD
	v_or_b32_sdwa v4, v4, v7 dst_sel:DWORD dst_unused:UNUSED_PAD src0_sel:BYTE_0 src1_sel:DWORD
	v_or_b32_sdwa v1, v1, v3 dst_sel:WORD_1 dst_unused:UNUSED_PAD src0_sel:BYTE_0 src1_sel:DWORD
	s_add_i32 s11, s11, -1
	v_or_b32_sdwa v1, v4, v1 dst_sel:DWORD dst_unused:UNUSED_PAD src0_sel:WORD_0 src1_sel:DWORD
	s_cmp_lg_u32 s11, 0
	s_barrier
	s_cbranch_scc0 .LBB23_4
.LBB23_2:                               ; =>This Inner Loop Header: Depth=1
	v_lshrrev_b32_e32 v3, 24, v1
	v_and_b32_sdwa v4, v1, s12 dst_sel:DWORD dst_unused:UNUSED_PAD src0_sel:WORD_1 src1_sel:DWORD
	v_lshrrev_b32_e32 v5, 8, v1
	v_cmp_eq_u16_e64 s[0:1], v4, v3
	v_cmp_eq_u16_sdwa s[4:5], v5, v4 src0_sel:BYTE_0 src1_sel:DWORD
	v_cmp_eq_u16_sdwa s[6:7], v1, v5 src0_sel:BYTE_0 src1_sel:BYTE_0
	v_mov_b32_e32 v4, 1
	ds_write_b8 v0, v3
	s_waitcnt lgkmcnt(0)
	s_barrier
	s_and_saveexec_b64 s[8:9], vcc
	s_cbranch_execz .LBB23_1
; %bb.3:                                ;   in Loop: Header=BB23_2 Depth=1
	ds_read_u8 v4, v2
	s_waitcnt lgkmcnt(0)
	v_cmp_eq_u16_sdwa s[14:15], v4, v1 src0_sel:DWORD src1_sel:BYTE_0
	v_cndmask_b32_e64 v4, 0, 1, s[14:15]
	s_branch .LBB23_1
.LBB23_4:
	s_add_u32 s0, s2, s10
	s_addc_u32 s1, s3, 0
	v_mov_b32_e32 v3, s1
	v_add_co_u32_e32 v2, vcc, s0, v0
	v_addc_co_u32_e32 v3, vcc, 0, v3, vcc
	v_lshrrev_b32_e32 v0, 8, v1
	global_store_byte v[2:3], v1, off
	global_store_byte v[2:3], v0, off offset:256
	global_store_byte_d16_hi v[2:3], v1, off offset:512
	v_lshrrev_b32_e32 v0, 24, v1
	global_store_byte v[2:3], v0, off offset:768
	s_endpgm
	.section	.rodata,"a",@progbits
	.p2align	6, 0x0
	.amdhsa_kernel _Z6kernelI10flag_headshLj256ELj4ELb0ELj100EEvPKT0_PS1_
		.amdhsa_group_segment_fixed_size 512
		.amdhsa_private_segment_fixed_size 0
		.amdhsa_kernarg_size 16
		.amdhsa_user_sgpr_count 6
		.amdhsa_user_sgpr_private_segment_buffer 1
		.amdhsa_user_sgpr_dispatch_ptr 0
		.amdhsa_user_sgpr_queue_ptr 0
		.amdhsa_user_sgpr_kernarg_segment_ptr 1
		.amdhsa_user_sgpr_dispatch_id 0
		.amdhsa_user_sgpr_flat_scratch_init 0
		.amdhsa_user_sgpr_private_segment_size 0
		.amdhsa_uses_dynamic_stack 0
		.amdhsa_system_sgpr_private_segment_wavefront_offset 0
		.amdhsa_system_sgpr_workgroup_id_x 1
		.amdhsa_system_sgpr_workgroup_id_y 0
		.amdhsa_system_sgpr_workgroup_id_z 0
		.amdhsa_system_sgpr_workgroup_info 0
		.amdhsa_system_vgpr_workitem_id 0
		.amdhsa_next_free_vgpr 8
		.amdhsa_next_free_sgpr 16
		.amdhsa_reserve_vcc 1
		.amdhsa_reserve_flat_scratch 0
		.amdhsa_float_round_mode_32 0
		.amdhsa_float_round_mode_16_64 0
		.amdhsa_float_denorm_mode_32 3
		.amdhsa_float_denorm_mode_16_64 3
		.amdhsa_dx10_clamp 1
		.amdhsa_ieee_mode 1
		.amdhsa_fp16_overflow 0
		.amdhsa_exception_fp_ieee_invalid_op 0
		.amdhsa_exception_fp_denorm_src 0
		.amdhsa_exception_fp_ieee_div_zero 0
		.amdhsa_exception_fp_ieee_overflow 0
		.amdhsa_exception_fp_ieee_underflow 0
		.amdhsa_exception_fp_ieee_inexact 0
		.amdhsa_exception_int_div_zero 0
	.end_amdhsa_kernel
	.section	.text._Z6kernelI10flag_headshLj256ELj4ELb0ELj100EEvPKT0_PS1_,"axG",@progbits,_Z6kernelI10flag_headshLj256ELj4ELb0ELj100EEvPKT0_PS1_,comdat
.Lfunc_end23:
	.size	_Z6kernelI10flag_headshLj256ELj4ELb0ELj100EEvPKT0_PS1_, .Lfunc_end23-_Z6kernelI10flag_headshLj256ELj4ELb0ELj100EEvPKT0_PS1_
                                        ; -- End function
	.set _Z6kernelI10flag_headshLj256ELj4ELb0ELj100EEvPKT0_PS1_.num_vgpr, 8
	.set _Z6kernelI10flag_headshLj256ELj4ELb0ELj100EEvPKT0_PS1_.num_agpr, 0
	.set _Z6kernelI10flag_headshLj256ELj4ELb0ELj100EEvPKT0_PS1_.numbered_sgpr, 16
	.set _Z6kernelI10flag_headshLj256ELj4ELb0ELj100EEvPKT0_PS1_.num_named_barrier, 0
	.set _Z6kernelI10flag_headshLj256ELj4ELb0ELj100EEvPKT0_PS1_.private_seg_size, 0
	.set _Z6kernelI10flag_headshLj256ELj4ELb0ELj100EEvPKT0_PS1_.uses_vcc, 1
	.set _Z6kernelI10flag_headshLj256ELj4ELb0ELj100EEvPKT0_PS1_.uses_flat_scratch, 0
	.set _Z6kernelI10flag_headshLj256ELj4ELb0ELj100EEvPKT0_PS1_.has_dyn_sized_stack, 0
	.set _Z6kernelI10flag_headshLj256ELj4ELb0ELj100EEvPKT0_PS1_.has_recursion, 0
	.set _Z6kernelI10flag_headshLj256ELj4ELb0ELj100EEvPKT0_PS1_.has_indirect_call, 0
	.section	.AMDGPU.csdata,"",@progbits
; Kernel info:
; codeLenInByte = 376
; TotalNumSgprs: 20
; NumVgprs: 8
; ScratchSize: 0
; MemoryBound: 0
; FloatMode: 240
; IeeeMode: 1
; LDSByteSize: 512 bytes/workgroup (compile time only)
; SGPRBlocks: 2
; VGPRBlocks: 1
; NumSGPRsForWavesPerEU: 20
; NumVGPRsForWavesPerEU: 8
; Occupancy: 10
; WaveLimiterHint : 1
; COMPUTE_PGM_RSRC2:SCRATCH_EN: 0
; COMPUTE_PGM_RSRC2:USER_SGPR: 6
; COMPUTE_PGM_RSRC2:TRAP_HANDLER: 0
; COMPUTE_PGM_RSRC2:TGID_X_EN: 1
; COMPUTE_PGM_RSRC2:TGID_Y_EN: 0
; COMPUTE_PGM_RSRC2:TGID_Z_EN: 0
; COMPUTE_PGM_RSRC2:TIDIG_COMP_CNT: 0
	.section	.text._Z6kernelI10flag_headshLj256ELj8ELb0ELj100EEvPKT0_PS1_,"axG",@progbits,_Z6kernelI10flag_headshLj256ELj8ELb0ELj100EEvPKT0_PS1_,comdat
	.protected	_Z6kernelI10flag_headshLj256ELj8ELb0ELj100EEvPKT0_PS1_ ; -- Begin function _Z6kernelI10flag_headshLj256ELj8ELb0ELj100EEvPKT0_PS1_
	.globl	_Z6kernelI10flag_headshLj256ELj8ELb0ELj100EEvPKT0_PS1_
	.p2align	8
	.type	_Z6kernelI10flag_headshLj256ELj8ELb0ELj100EEvPKT0_PS1_,@function
_Z6kernelI10flag_headshLj256ELj8ELb0ELj100EEvPKT0_PS1_: ; @_Z6kernelI10flag_headshLj256ELj8ELb0ELj100EEvPKT0_PS1_
; %bb.0:
	s_load_dwordx4 s[0:3], s[4:5], 0x0
	s_lshl_b32 s4, s6, 11
	s_movk_i32 s5, 0x64
	s_movk_i32 s6, 0xff
	v_cmp_ne_u32_e32 vcc, 0, v0
	s_waitcnt lgkmcnt(0)
	s_add_u32 s0, s0, s4
	s_addc_u32 s1, s1, 0
	global_load_ubyte v1, v0, s[0:1] offset:256
	global_load_ubyte v2, v0, s[0:1] offset:1536
	;; [unrolled: 1-line block ×4, first 2 shown]
	global_load_ubyte v6, v0, s[0:1]
	global_load_ubyte v7, v0, s[0:1] offset:768
	global_load_ubyte v8, v0, s[0:1] offset:1280
	;; [unrolled: 1-line block ×3, first 2 shown]
	s_mov_b32 s0, 0xc0c0004
	v_add_u32_e32 v5, -1, v0
	s_waitcnt vmcnt(3)
	v_perm_b32 v1, v6, v1, s0
	s_waitcnt vmcnt(2)
	v_perm_b32 v4, v4, v7, s0
	;; [unrolled: 2-line block ×4, first 2 shown]
	v_lshl_or_b32 v1, v4, 16, v1
	v_lshl_or_b32 v2, v2, 16, v3
	v_mov_b32_e32 v6, 8
	s_branch .LBB24_2
.LBB24_1:                               ;   in Loop: Header=BB24_2 Depth=1
	s_or_b64 exec, exec, s[0:1]
	v_add_u16_e32 v10, v12, v1
	v_add_u16_sdwa v8, v12, v8 dst_sel:BYTE_1 dst_unused:UNUSED_PAD src0_sel:BYTE_1 src1_sel:DWORD
	v_or_b32_sdwa v8, v10, v8 dst_sel:DWORD dst_unused:UNUSED_PAD src0_sel:BYTE_0 src1_sel:DWORD
	v_add_u16_sdwa v1, v12, v1 dst_sel:DWORD dst_unused:UNUSED_PAD src0_sel:WORD_1 src1_sel:WORD_1
	v_add_u16_sdwa v10, v12, v3 dst_sel:BYTE_1 dst_unused:UNUSED_PAD src0_sel:BYTE_3 src1_sel:DWORD
	v_or_b32_sdwa v3, v1, v10 dst_sel:DWORD dst_unused:UNUSED_PAD src0_sel:BYTE_0 src1_sel:DWORD
	v_add_u16_e32 v1, v9, v2
	v_add_u16_sdwa v7, v9, v7 dst_sel:BYTE_1 dst_unused:UNUSED_PAD src0_sel:BYTE_1 src1_sel:DWORD
	v_or_b32_sdwa v7, v1, v7 dst_sel:DWORD dst_unused:UNUSED_PAD src0_sel:BYTE_0 src1_sel:DWORD
	v_add_u16_sdwa v1, v9, v2 dst_sel:DWORD dst_unused:UNUSED_PAD src0_sel:WORD_1 src1_sel:WORD_1
	v_add_u16_sdwa v2, v9, v4 dst_sel:BYTE_1 dst_unused:UNUSED_PAD src0_sel:BYTE_3 src1_sel:DWORD
	v_or_b32_sdwa v4, v1, v2 dst_sel:DWORD dst_unused:UNUSED_PAD src0_sel:BYTE_0 src1_sel:DWORD
	v_lshrrev_b32_sdwa v9, v6, v7 dst_sel:BYTE_1 dst_unused:UNUSED_PAD src0_sel:DWORD src1_sel:WORD_0
	v_lshrrev_b32_sdwa v2, v6, v2 dst_sel:BYTE_1 dst_unused:UNUSED_PAD src0_sel:DWORD src1_sel:DWORD
	v_lshrrev_b32_sdwa v1, v6, v8 dst_sel:BYTE_1 dst_unused:UNUSED_PAD src0_sel:DWORD src1_sel:WORD_0
	v_lshrrev_b32_sdwa v10, v6, v10 dst_sel:BYTE_1 dst_unused:UNUSED_PAD src0_sel:DWORD src1_sel:DWORD
	v_or_b32_sdwa v1, v8, v1 dst_sel:DWORD dst_unused:UNUSED_PAD src0_sel:BYTE_0 src1_sel:DWORD
	v_or_b32_sdwa v10, v3, v10 dst_sel:WORD_1 dst_unused:UNUSED_PAD src0_sel:BYTE_0 src1_sel:DWORD
	v_or_b32_sdwa v9, v7, v9 dst_sel:DWORD dst_unused:UNUSED_PAD src0_sel:BYTE_0 src1_sel:DWORD
	v_or_b32_sdwa v2, v4, v2 dst_sel:WORD_1 dst_unused:UNUSED_PAD src0_sel:BYTE_0 src1_sel:DWORD
	s_add_i32 s5, s5, -1
	v_or_b32_sdwa v1, v1, v10 dst_sel:DWORD dst_unused:UNUSED_PAD src0_sel:WORD_0 src1_sel:DWORD
	s_cmp_lg_u32 s5, 0
	v_or_b32_sdwa v2, v9, v2 dst_sel:DWORD dst_unused:UNUSED_PAD src0_sel:WORD_0 src1_sel:DWORD
	s_barrier
	s_cbranch_scc0 .LBB24_4
.LBB24_2:                               ; =>This Inner Loop Header: Depth=1
	v_lshrrev_b64 v[3:4], 24, v[1:2]
	v_and_b32_sdwa v10, v2, s6 dst_sel:DWORD dst_unused:UNUSED_PAD src0_sel:WORD_1 src1_sel:DWORD
	v_lshrrev_b32_e32 v4, 24, v2
	v_lshrrev_b32_e32 v7, 8, v2
	v_cmp_eq_u16_e64 s[0:1], v10, v4
	v_cndmask_b32_e64 v12, 0, 1, s[0:1]
	v_cmp_eq_u16_sdwa s[0:1], v7, v10 src0_sel:BYTE_0 src1_sel:DWORD
	v_and_b32_sdwa v9, v1, s6 dst_sel:DWORD dst_unused:UNUSED_PAD src0_sel:WORD_1 src1_sel:DWORD
	v_cndmask_b32_e64 v13, 0, 1, s[0:1]
	v_cmp_eq_u16_sdwa s[0:1], v2, v7 src0_sel:BYTE_0 src1_sel:BYTE_0
	v_cndmask_b32_e64 v14, 0, 1, s[0:1]
	v_cmp_eq_u16_sdwa s[0:1], v9, v3 src0_sel:DWORD src1_sel:BYTE_0
	v_cndmask_b32_e64 v10, 0, 1, s[0:1]
	v_cmp_eq_u16_sdwa s[0:1], v1, v9 src0_sel:BYTE_1 src1_sel:DWORD
	v_lshrrev_b32_e32 v8, 8, v1
	v_lshlrev_b16_e32 v15, 8, v10
	v_cndmask_b32_e64 v9, 0, 1, s[0:1]
	v_cmp_eq_u16_sdwa s[0:1], v1, v2 src0_sel:BYTE_3 src1_sel:BYTE_0
	v_or_b32_e32 v10, v9, v15
	v_cndmask_b32_e64 v9, 0, 1, s[0:1]
	v_cmp_eq_u16_sdwa s[0:1], v1, v8 src0_sel:BYTE_0 src1_sel:BYTE_0
	v_cndmask_b32_e64 v11, 0, 1, s[0:1]
	v_lshlrev_b16_e32 v14, 8, v14
	v_lshlrev_b16_e32 v12, 8, v12
	;; [unrolled: 1-line block ×3, first 2 shown]
	v_or_b32_e32 v9, v9, v14
	v_or_b32_sdwa v12, v13, v12 dst_sel:WORD_1 dst_unused:UNUSED_PAD src0_sel:DWORD src1_sel:DWORD
	v_or_b32_e32 v11, 1, v11
	v_or_b32_sdwa v9, v9, v12 dst_sel:DWORD dst_unused:UNUSED_PAD src0_sel:WORD_0 src1_sel:DWORD
	v_and_b32_e32 v12, 1, v10
	v_lshrrev_b32_sdwa v13, v6, v15 dst_sel:BYTE_1 dst_unused:UNUSED_PAD src0_sel:DWORD src1_sel:DWORD
	v_or_b32_sdwa v12, v12, v13 dst_sel:WORD_1 dst_unused:UNUSED_PAD src0_sel:DWORD src1_sel:DWORD
	v_lshrrev_b32_sdwa v13, v6, v11 dst_sel:BYTE_1 dst_unused:UNUSED_PAD src0_sel:DWORD src1_sel:WORD_0
	v_or_b32_e32 v13, 1, v13
	v_or_b32_sdwa v12, v13, v12 dst_sel:DWORD dst_unused:UNUSED_PAD src0_sel:WORD_0 src1_sel:DWORD
	ds_write_b8 v0, v4
	s_waitcnt lgkmcnt(0)
	s_barrier
	s_and_saveexec_b64 s[0:1], vcc
	s_cbranch_execz .LBB24_1
; %bb.3:                                ;   in Loop: Header=BB24_2 Depth=1
	ds_read_u8 v12, v5
	v_lshlrev_b32_e32 v10, 16, v10
	v_or_b32_sdwa v10, v11, v10 dst_sel:DWORD dst_unused:UNUSED_PAD src0_sel:WORD_0 src1_sel:DWORD
	v_lshrrev_b32_sdwa v11, v6, v10 dst_sel:BYTE_1 dst_unused:UNUSED_PAD src0_sel:DWORD src1_sel:DWORD
	s_waitcnt lgkmcnt(0)
	v_cmp_eq_u16_sdwa s[8:9], v12, v1 src0_sel:DWORD src1_sel:BYTE_0
	v_cndmask_b32_e64 v12, 0, 1, s[8:9]
	v_or_b32_e32 v11, v12, v11
	v_lshrrev_b32_e32 v12, 24, v10
	v_lshlrev_b16_e32 v12, 8, v12
	v_and_b32_sdwa v10, v10, s6 dst_sel:DWORD dst_unused:UNUSED_PAD src0_sel:WORD_1 src1_sel:DWORD
	v_or_b32_sdwa v10, v10, v12 dst_sel:WORD_1 dst_unused:UNUSED_PAD src0_sel:DWORD src1_sel:DWORD
	v_or_b32_sdwa v12, v11, v10 dst_sel:DWORD dst_unused:UNUSED_PAD src0_sel:WORD_0 src1_sel:DWORD
	s_branch .LBB24_1
.LBB24_4:
	v_lshlrev_b32_e32 v1, 16, v3
	s_add_u32 s0, s2, s4
	v_or_b32_sdwa v2, v8, v1 dst_sel:DWORD dst_unused:UNUSED_PAD src0_sel:WORD_0 src1_sel:DWORD
	v_lshlrev_b32_e32 v1, 16, v4
	s_addc_u32 s1, s3, 0
	v_or_b32_sdwa v3, v7, v1 dst_sel:DWORD dst_unused:UNUSED_PAD src0_sel:WORD_0 src1_sel:DWORD
	v_mov_b32_e32 v1, s1
	v_add_co_u32_e32 v0, vcc, s0, v0
	v_addc_co_u32_e32 v1, vcc, 0, v1, vcc
	v_lshrrev_b32_e32 v4, 8, v2
	global_store_byte v[0:1], v2, off
	global_store_byte v[0:1], v4, off offset:256
	global_store_byte_d16_hi v[0:1], v2, off offset:512
	v_lshrrev_b32_e32 v2, 24, v2
	global_store_byte v[0:1], v2, off offset:768
	global_store_byte v[0:1], v3, off offset:1024
	v_lshrrev_b32_e32 v2, 8, v3
	global_store_byte v[0:1], v2, off offset:1280
	global_store_byte_d16_hi v[0:1], v3, off offset:1536
	v_lshrrev_b32_e32 v2, 24, v3
	global_store_byte v[0:1], v2, off offset:1792
	s_endpgm
	.section	.rodata,"a",@progbits
	.p2align	6, 0x0
	.amdhsa_kernel _Z6kernelI10flag_headshLj256ELj8ELb0ELj100EEvPKT0_PS1_
		.amdhsa_group_segment_fixed_size 512
		.amdhsa_private_segment_fixed_size 0
		.amdhsa_kernarg_size 16
		.amdhsa_user_sgpr_count 6
		.amdhsa_user_sgpr_private_segment_buffer 1
		.amdhsa_user_sgpr_dispatch_ptr 0
		.amdhsa_user_sgpr_queue_ptr 0
		.amdhsa_user_sgpr_kernarg_segment_ptr 1
		.amdhsa_user_sgpr_dispatch_id 0
		.amdhsa_user_sgpr_flat_scratch_init 0
		.amdhsa_user_sgpr_private_segment_size 0
		.amdhsa_uses_dynamic_stack 0
		.amdhsa_system_sgpr_private_segment_wavefront_offset 0
		.amdhsa_system_sgpr_workgroup_id_x 1
		.amdhsa_system_sgpr_workgroup_id_y 0
		.amdhsa_system_sgpr_workgroup_id_z 0
		.amdhsa_system_sgpr_workgroup_info 0
		.amdhsa_system_vgpr_workitem_id 0
		.amdhsa_next_free_vgpr 16
		.amdhsa_next_free_sgpr 10
		.amdhsa_reserve_vcc 1
		.amdhsa_reserve_flat_scratch 0
		.amdhsa_float_round_mode_32 0
		.amdhsa_float_round_mode_16_64 0
		.amdhsa_float_denorm_mode_32 3
		.amdhsa_float_denorm_mode_16_64 3
		.amdhsa_dx10_clamp 1
		.amdhsa_ieee_mode 1
		.amdhsa_fp16_overflow 0
		.amdhsa_exception_fp_ieee_invalid_op 0
		.amdhsa_exception_fp_denorm_src 0
		.amdhsa_exception_fp_ieee_div_zero 0
		.amdhsa_exception_fp_ieee_overflow 0
		.amdhsa_exception_fp_ieee_underflow 0
		.amdhsa_exception_fp_ieee_inexact 0
		.amdhsa_exception_int_div_zero 0
	.end_amdhsa_kernel
	.section	.text._Z6kernelI10flag_headshLj256ELj8ELb0ELj100EEvPKT0_PS1_,"axG",@progbits,_Z6kernelI10flag_headshLj256ELj8ELb0ELj100EEvPKT0_PS1_,comdat
.Lfunc_end24:
	.size	_Z6kernelI10flag_headshLj256ELj8ELb0ELj100EEvPKT0_PS1_, .Lfunc_end24-_Z6kernelI10flag_headshLj256ELj8ELb0ELj100EEvPKT0_PS1_
                                        ; -- End function
	.set _Z6kernelI10flag_headshLj256ELj8ELb0ELj100EEvPKT0_PS1_.num_vgpr, 16
	.set _Z6kernelI10flag_headshLj256ELj8ELb0ELj100EEvPKT0_PS1_.num_agpr, 0
	.set _Z6kernelI10flag_headshLj256ELj8ELb0ELj100EEvPKT0_PS1_.numbered_sgpr, 10
	.set _Z6kernelI10flag_headshLj256ELj8ELb0ELj100EEvPKT0_PS1_.num_named_barrier, 0
	.set _Z6kernelI10flag_headshLj256ELj8ELb0ELj100EEvPKT0_PS1_.private_seg_size, 0
	.set _Z6kernelI10flag_headshLj256ELj8ELb0ELj100EEvPKT0_PS1_.uses_vcc, 1
	.set _Z6kernelI10flag_headshLj256ELj8ELb0ELj100EEvPKT0_PS1_.uses_flat_scratch, 0
	.set _Z6kernelI10flag_headshLj256ELj8ELb0ELj100EEvPKT0_PS1_.has_dyn_sized_stack, 0
	.set _Z6kernelI10flag_headshLj256ELj8ELb0ELj100EEvPKT0_PS1_.has_recursion, 0
	.set _Z6kernelI10flag_headshLj256ELj8ELb0ELj100EEvPKT0_PS1_.has_indirect_call, 0
	.section	.AMDGPU.csdata,"",@progbits
; Kernel info:
; codeLenInByte = 844
; TotalNumSgprs: 14
; NumVgprs: 16
; ScratchSize: 0
; MemoryBound: 0
; FloatMode: 240
; IeeeMode: 1
; LDSByteSize: 512 bytes/workgroup (compile time only)
; SGPRBlocks: 1
; VGPRBlocks: 3
; NumSGPRsForWavesPerEU: 14
; NumVGPRsForWavesPerEU: 16
; Occupancy: 10
; WaveLimiterHint : 1
; COMPUTE_PGM_RSRC2:SCRATCH_EN: 0
; COMPUTE_PGM_RSRC2:USER_SGPR: 6
; COMPUTE_PGM_RSRC2:TRAP_HANDLER: 0
; COMPUTE_PGM_RSRC2:TGID_X_EN: 1
; COMPUTE_PGM_RSRC2:TGID_Y_EN: 0
; COMPUTE_PGM_RSRC2:TGID_Z_EN: 0
; COMPUTE_PGM_RSRC2:TIDIG_COMP_CNT: 0
	.section	.text._Z6kernelI10flag_headshLj256ELj1ELb1ELj100EEvPKT0_PS1_,"axG",@progbits,_Z6kernelI10flag_headshLj256ELj1ELb1ELj100EEvPKT0_PS1_,comdat
	.protected	_Z6kernelI10flag_headshLj256ELj1ELb1ELj100EEvPKT0_PS1_ ; -- Begin function _Z6kernelI10flag_headshLj256ELj1ELb1ELj100EEvPKT0_PS1_
	.globl	_Z6kernelI10flag_headshLj256ELj1ELb1ELj100EEvPKT0_PS1_
	.p2align	8
	.type	_Z6kernelI10flag_headshLj256ELj1ELb1ELj100EEvPKT0_PS1_,@function
_Z6kernelI10flag_headshLj256ELj1ELb1ELj100EEvPKT0_PS1_: ; @_Z6kernelI10flag_headshLj256ELj1ELb1ELj100EEvPKT0_PS1_
; %bb.0:
	s_load_dwordx4 s[0:3], s[4:5], 0x0
	s_lshl_b32 s4, s6, 8
	v_cmp_ne_u32_e32 vcc, 0, v0
	v_add_u32_e32 v2, -1, v0
	s_movk_i32 s5, 0x64
	s_waitcnt lgkmcnt(0)
	s_add_u32 s0, s0, s4
	s_addc_u32 s1, s1, 0
	global_load_ubyte v1, v0, s[0:1]
	s_branch .LBB25_2
.LBB25_1:                               ;   in Loop: Header=BB25_2 Depth=1
	s_or_b64 exec, exec, s[0:1]
	s_waitcnt lgkmcnt(0)
	v_cmp_eq_u16_sdwa s[0:1], v3, v1 src0_sel:BYTE_0 src1_sel:BYTE_0
	v_cndmask_b32_e64 v3, 0, 1, s[0:1]
	s_add_i32 s5, s5, -1
	v_add_u16_e32 v1, v1, v3
	s_cmp_lg_u32 s5, 0
	s_barrier
	s_cbranch_scc0 .LBB25_4
.LBB25_2:                               ; =>This Inner Loop Header: Depth=1
	v_mov_b32_e32 v3, 0x7b
	s_waitcnt vmcnt(0)
	ds_write_b8 v0, v1
	s_waitcnt lgkmcnt(0)
	s_barrier
	s_and_saveexec_b64 s[0:1], vcc
	s_cbranch_execz .LBB25_1
; %bb.3:                                ;   in Loop: Header=BB25_2 Depth=1
	ds_read_u8 v3, v2
	s_branch .LBB25_1
.LBB25_4:
	s_add_u32 s0, s2, s4
	s_addc_u32 s1, s3, 0
	v_mov_b32_e32 v3, s1
	v_add_co_u32_e32 v2, vcc, s0, v0
	v_addc_co_u32_e32 v3, vcc, 0, v3, vcc
	global_store_byte v[2:3], v1, off
	s_endpgm
	.section	.rodata,"a",@progbits
	.p2align	6, 0x0
	.amdhsa_kernel _Z6kernelI10flag_headshLj256ELj1ELb1ELj100EEvPKT0_PS1_
		.amdhsa_group_segment_fixed_size 512
		.amdhsa_private_segment_fixed_size 0
		.amdhsa_kernarg_size 16
		.amdhsa_user_sgpr_count 6
		.amdhsa_user_sgpr_private_segment_buffer 1
		.amdhsa_user_sgpr_dispatch_ptr 0
		.amdhsa_user_sgpr_queue_ptr 0
		.amdhsa_user_sgpr_kernarg_segment_ptr 1
		.amdhsa_user_sgpr_dispatch_id 0
		.amdhsa_user_sgpr_flat_scratch_init 0
		.amdhsa_user_sgpr_private_segment_size 0
		.amdhsa_uses_dynamic_stack 0
		.amdhsa_system_sgpr_private_segment_wavefront_offset 0
		.amdhsa_system_sgpr_workgroup_id_x 1
		.amdhsa_system_sgpr_workgroup_id_y 0
		.amdhsa_system_sgpr_workgroup_id_z 0
		.amdhsa_system_sgpr_workgroup_info 0
		.amdhsa_system_vgpr_workitem_id 0
		.amdhsa_next_free_vgpr 4
		.amdhsa_next_free_sgpr 7
		.amdhsa_reserve_vcc 1
		.amdhsa_reserve_flat_scratch 0
		.amdhsa_float_round_mode_32 0
		.amdhsa_float_round_mode_16_64 0
		.amdhsa_float_denorm_mode_32 3
		.amdhsa_float_denorm_mode_16_64 3
		.amdhsa_dx10_clamp 1
		.amdhsa_ieee_mode 1
		.amdhsa_fp16_overflow 0
		.amdhsa_exception_fp_ieee_invalid_op 0
		.amdhsa_exception_fp_denorm_src 0
		.amdhsa_exception_fp_ieee_div_zero 0
		.amdhsa_exception_fp_ieee_overflow 0
		.amdhsa_exception_fp_ieee_underflow 0
		.amdhsa_exception_fp_ieee_inexact 0
		.amdhsa_exception_int_div_zero 0
	.end_amdhsa_kernel
	.section	.text._Z6kernelI10flag_headshLj256ELj1ELb1ELj100EEvPKT0_PS1_,"axG",@progbits,_Z6kernelI10flag_headshLj256ELj1ELb1ELj100EEvPKT0_PS1_,comdat
.Lfunc_end25:
	.size	_Z6kernelI10flag_headshLj256ELj1ELb1ELj100EEvPKT0_PS1_, .Lfunc_end25-_Z6kernelI10flag_headshLj256ELj1ELb1ELj100EEvPKT0_PS1_
                                        ; -- End function
	.set _Z6kernelI10flag_headshLj256ELj1ELb1ELj100EEvPKT0_PS1_.num_vgpr, 4
	.set _Z6kernelI10flag_headshLj256ELj1ELb1ELj100EEvPKT0_PS1_.num_agpr, 0
	.set _Z6kernelI10flag_headshLj256ELj1ELb1ELj100EEvPKT0_PS1_.numbered_sgpr, 7
	.set _Z6kernelI10flag_headshLj256ELj1ELb1ELj100EEvPKT0_PS1_.num_named_barrier, 0
	.set _Z6kernelI10flag_headshLj256ELj1ELb1ELj100EEvPKT0_PS1_.private_seg_size, 0
	.set _Z6kernelI10flag_headshLj256ELj1ELb1ELj100EEvPKT0_PS1_.uses_vcc, 1
	.set _Z6kernelI10flag_headshLj256ELj1ELb1ELj100EEvPKT0_PS1_.uses_flat_scratch, 0
	.set _Z6kernelI10flag_headshLj256ELj1ELb1ELj100EEvPKT0_PS1_.has_dyn_sized_stack, 0
	.set _Z6kernelI10flag_headshLj256ELj1ELb1ELj100EEvPKT0_PS1_.has_recursion, 0
	.set _Z6kernelI10flag_headshLj256ELj1ELb1ELj100EEvPKT0_PS1_.has_indirect_call, 0
	.section	.AMDGPU.csdata,"",@progbits
; Kernel info:
; codeLenInByte = 172
; TotalNumSgprs: 11
; NumVgprs: 4
; ScratchSize: 0
; MemoryBound: 0
; FloatMode: 240
; IeeeMode: 1
; LDSByteSize: 512 bytes/workgroup (compile time only)
; SGPRBlocks: 1
; VGPRBlocks: 0
; NumSGPRsForWavesPerEU: 11
; NumVGPRsForWavesPerEU: 4
; Occupancy: 10
; WaveLimiterHint : 0
; COMPUTE_PGM_RSRC2:SCRATCH_EN: 0
; COMPUTE_PGM_RSRC2:USER_SGPR: 6
; COMPUTE_PGM_RSRC2:TRAP_HANDLER: 0
; COMPUTE_PGM_RSRC2:TGID_X_EN: 1
; COMPUTE_PGM_RSRC2:TGID_Y_EN: 0
; COMPUTE_PGM_RSRC2:TGID_Z_EN: 0
; COMPUTE_PGM_RSRC2:TIDIG_COMP_CNT: 0
	.section	.text._Z6kernelI10flag_headshLj256ELj2ELb1ELj100EEvPKT0_PS1_,"axG",@progbits,_Z6kernelI10flag_headshLj256ELj2ELb1ELj100EEvPKT0_PS1_,comdat
	.protected	_Z6kernelI10flag_headshLj256ELj2ELb1ELj100EEvPKT0_PS1_ ; -- Begin function _Z6kernelI10flag_headshLj256ELj2ELb1ELj100EEvPKT0_PS1_
	.globl	_Z6kernelI10flag_headshLj256ELj2ELb1ELj100EEvPKT0_PS1_
	.p2align	8
	.type	_Z6kernelI10flag_headshLj256ELj2ELb1ELj100EEvPKT0_PS1_,@function
_Z6kernelI10flag_headshLj256ELj2ELb1ELj100EEvPKT0_PS1_: ; @_Z6kernelI10flag_headshLj256ELj2ELb1ELj100EEvPKT0_PS1_
; %bb.0:
	s_load_dwordx4 s[0:3], s[4:5], 0x0
	s_lshl_b32 s4, s6, 9
	v_cmp_ne_u32_e32 vcc, 0, v0
	v_add_u32_e32 v1, -1, v0
	s_movk_i32 s5, 0x64
	s_waitcnt lgkmcnt(0)
	s_add_u32 s0, s0, s4
	s_addc_u32 s1, s1, 0
	global_load_ubyte v2, v0, s[0:1] offset:256
	global_load_ubyte v3, v0, s[0:1]
	s_mov_b32 s0, 0xc0c0004
	s_waitcnt vmcnt(0)
	v_perm_b32 v2, v3, v2, s0
	s_branch .LBB26_2
.LBB26_1:                               ;   in Loop: Header=BB26_2 Depth=1
	s_or_b64 exec, exec, s[0:1]
	v_cmp_eq_u16_sdwa s[0:1], v2, v4 src0_sel:BYTE_0 src1_sel:DWORD
	v_cndmask_b32_e64 v5, 0, 1, s[0:1]
	s_waitcnt lgkmcnt(0)
	v_cmp_eq_u16_sdwa s[0:1], v3, v2 src0_sel:BYTE_0 src1_sel:BYTE_0
	v_cndmask_b32_e64 v3, 0, 1, s[0:1]
	v_add_u16_e32 v4, v4, v5
	v_add_u16_e32 v3, v2, v3
	v_lshlrev_b16_e32 v2, 8, v4
	v_or_b32_sdwa v2, v3, v2 dst_sel:DWORD dst_unused:UNUSED_PAD src0_sel:BYTE_0 src1_sel:DWORD
	s_add_i32 s5, s5, -1
	v_and_b32_e32 v2, 0xffff, v2
	s_cmp_lg_u32 s5, 0
	s_barrier
	s_cbranch_scc0 .LBB26_4
.LBB26_2:                               ; =>This Inner Loop Header: Depth=1
	v_lshrrev_b16_e32 v4, 8, v2
	v_mov_b32_e32 v3, 0x7b
	ds_write_b8 v0, v4
	s_waitcnt lgkmcnt(0)
	s_barrier
	s_and_saveexec_b64 s[0:1], vcc
	s_cbranch_execz .LBB26_1
; %bb.3:                                ;   in Loop: Header=BB26_2 Depth=1
	ds_read_u8 v3, v1
	s_branch .LBB26_1
.LBB26_4:
	s_add_u32 s0, s2, s4
	s_addc_u32 s1, s3, 0
	v_mov_b32_e32 v1, s1
	v_add_co_u32_e32 v0, vcc, s0, v0
	v_addc_co_u32_e32 v1, vcc, 0, v1, vcc
	global_store_byte v[0:1], v3, off
	global_store_byte v[0:1], v4, off offset:256
	s_endpgm
	.section	.rodata,"a",@progbits
	.p2align	6, 0x0
	.amdhsa_kernel _Z6kernelI10flag_headshLj256ELj2ELb1ELj100EEvPKT0_PS1_
		.amdhsa_group_segment_fixed_size 512
		.amdhsa_private_segment_fixed_size 0
		.amdhsa_kernarg_size 16
		.amdhsa_user_sgpr_count 6
		.amdhsa_user_sgpr_private_segment_buffer 1
		.amdhsa_user_sgpr_dispatch_ptr 0
		.amdhsa_user_sgpr_queue_ptr 0
		.amdhsa_user_sgpr_kernarg_segment_ptr 1
		.amdhsa_user_sgpr_dispatch_id 0
		.amdhsa_user_sgpr_flat_scratch_init 0
		.amdhsa_user_sgpr_private_segment_size 0
		.amdhsa_uses_dynamic_stack 0
		.amdhsa_system_sgpr_private_segment_wavefront_offset 0
		.amdhsa_system_sgpr_workgroup_id_x 1
		.amdhsa_system_sgpr_workgroup_id_y 0
		.amdhsa_system_sgpr_workgroup_id_z 0
		.amdhsa_system_sgpr_workgroup_info 0
		.amdhsa_system_vgpr_workitem_id 0
		.amdhsa_next_free_vgpr 6
		.amdhsa_next_free_sgpr 7
		.amdhsa_reserve_vcc 1
		.amdhsa_reserve_flat_scratch 0
		.amdhsa_float_round_mode_32 0
		.amdhsa_float_round_mode_16_64 0
		.amdhsa_float_denorm_mode_32 3
		.amdhsa_float_denorm_mode_16_64 3
		.amdhsa_dx10_clamp 1
		.amdhsa_ieee_mode 1
		.amdhsa_fp16_overflow 0
		.amdhsa_exception_fp_ieee_invalid_op 0
		.amdhsa_exception_fp_denorm_src 0
		.amdhsa_exception_fp_ieee_div_zero 0
		.amdhsa_exception_fp_ieee_overflow 0
		.amdhsa_exception_fp_ieee_underflow 0
		.amdhsa_exception_fp_ieee_inexact 0
		.amdhsa_exception_int_div_zero 0
	.end_amdhsa_kernel
	.section	.text._Z6kernelI10flag_headshLj256ELj2ELb1ELj100EEvPKT0_PS1_,"axG",@progbits,_Z6kernelI10flag_headshLj256ELj2ELb1ELj100EEvPKT0_PS1_,comdat
.Lfunc_end26:
	.size	_Z6kernelI10flag_headshLj256ELj2ELb1ELj100EEvPKT0_PS1_, .Lfunc_end26-_Z6kernelI10flag_headshLj256ELj2ELb1ELj100EEvPKT0_PS1_
                                        ; -- End function
	.set _Z6kernelI10flag_headshLj256ELj2ELb1ELj100EEvPKT0_PS1_.num_vgpr, 6
	.set _Z6kernelI10flag_headshLj256ELj2ELb1ELj100EEvPKT0_PS1_.num_agpr, 0
	.set _Z6kernelI10flag_headshLj256ELj2ELb1ELj100EEvPKT0_PS1_.numbered_sgpr, 7
	.set _Z6kernelI10flag_headshLj256ELj2ELb1ELj100EEvPKT0_PS1_.num_named_barrier, 0
	.set _Z6kernelI10flag_headshLj256ELj2ELb1ELj100EEvPKT0_PS1_.private_seg_size, 0
	.set _Z6kernelI10flag_headshLj256ELj2ELb1ELj100EEvPKT0_PS1_.uses_vcc, 1
	.set _Z6kernelI10flag_headshLj256ELj2ELb1ELj100EEvPKT0_PS1_.uses_flat_scratch, 0
	.set _Z6kernelI10flag_headshLj256ELj2ELb1ELj100EEvPKT0_PS1_.has_dyn_sized_stack, 0
	.set _Z6kernelI10flag_headshLj256ELj2ELb1ELj100EEvPKT0_PS1_.has_recursion, 0
	.set _Z6kernelI10flag_headshLj256ELj2ELb1ELj100EEvPKT0_PS1_.has_indirect_call, 0
	.section	.AMDGPU.csdata,"",@progbits
; Kernel info:
; codeLenInByte = 248
; TotalNumSgprs: 11
; NumVgprs: 6
; ScratchSize: 0
; MemoryBound: 0
; FloatMode: 240
; IeeeMode: 1
; LDSByteSize: 512 bytes/workgroup (compile time only)
; SGPRBlocks: 1
; VGPRBlocks: 1
; NumSGPRsForWavesPerEU: 11
; NumVGPRsForWavesPerEU: 6
; Occupancy: 10
; WaveLimiterHint : 1
; COMPUTE_PGM_RSRC2:SCRATCH_EN: 0
; COMPUTE_PGM_RSRC2:USER_SGPR: 6
; COMPUTE_PGM_RSRC2:TRAP_HANDLER: 0
; COMPUTE_PGM_RSRC2:TGID_X_EN: 1
; COMPUTE_PGM_RSRC2:TGID_Y_EN: 0
; COMPUTE_PGM_RSRC2:TGID_Z_EN: 0
; COMPUTE_PGM_RSRC2:TIDIG_COMP_CNT: 0
	.section	.text._Z6kernelI10flag_headshLj256ELj3ELb1ELj100EEvPKT0_PS1_,"axG",@progbits,_Z6kernelI10flag_headshLj256ELj3ELb1ELj100EEvPKT0_PS1_,comdat
	.protected	_Z6kernelI10flag_headshLj256ELj3ELb1ELj100EEvPKT0_PS1_ ; -- Begin function _Z6kernelI10flag_headshLj256ELj3ELb1ELj100EEvPKT0_PS1_
	.globl	_Z6kernelI10flag_headshLj256ELj3ELb1ELj100EEvPKT0_PS1_
	.p2align	8
	.type	_Z6kernelI10flag_headshLj256ELj3ELb1ELj100EEvPKT0_PS1_,@function
_Z6kernelI10flag_headshLj256ELj3ELb1ELj100EEvPKT0_PS1_: ; @_Z6kernelI10flag_headshLj256ELj3ELb1ELj100EEvPKT0_PS1_
; %bb.0:
	s_load_dwordx4 s[0:3], s[4:5], 0x0
	s_mul_i32 s4, s6, 0x300
	v_cmp_ne_u32_e32 vcc, 0, v0
	v_add_u32_e32 v1, -1, v0
	s_movk_i32 s5, 0x64
	s_waitcnt lgkmcnt(0)
	s_add_u32 s0, s0, s4
	s_addc_u32 s1, s1, 0
	global_load_ubyte v2, v0, s[0:1] offset:256
	global_load_ubyte v3, v0, s[0:1] offset:512
	global_load_ubyte v4, v0, s[0:1]
	s_mov_b32 s0, 0xc0c0004
	s_waitcnt vmcnt(0)
	v_perm_b32 v2, v4, v2, s0
	v_lshl_or_b32 v2, v3, 16, v2
	s_branch .LBB27_2
.LBB27_1:                               ;   in Loop: Header=BB27_2 Depth=1
	s_or_b64 exec, exec, s[0:1]
	v_lshrrev_b32_e32 v4, 8, v2
	v_cmp_eq_u16_sdwa s[0:1], v4, v5 src0_sel:BYTE_0 src1_sel:BYTE_0
	v_cndmask_b32_e64 v6, 0, 1, s[0:1]
	v_cmp_eq_u16_sdwa s[0:1], v2, v4 src0_sel:BYTE_0 src1_sel:BYTE_0
	v_cndmask_b32_e64 v7, 0, 1, s[0:1]
	s_waitcnt lgkmcnt(0)
	v_cmp_eq_u16_sdwa s[0:1], v3, v2 src0_sel:BYTE_0 src1_sel:BYTE_0
	v_cndmask_b32_e64 v3, 0, 1, s[0:1]
	v_add_u16_e32 v4, v4, v7
	v_add_u16_e32 v5, v5, v6
	;; [unrolled: 1-line block ×3, first 2 shown]
	v_lshlrev_b16_e32 v2, 8, v4
	v_and_b32_e32 v6, 0xff, v5
	v_or_b32_sdwa v2, v3, v2 dst_sel:DWORD dst_unused:UNUSED_PAD src0_sel:BYTE_0 src1_sel:DWORD
	v_lshlrev_b32_e32 v6, 16, v6
	s_add_i32 s5, s5, -1
	v_or_b32_sdwa v2, v2, v6 dst_sel:DWORD dst_unused:UNUSED_PAD src0_sel:WORD_0 src1_sel:DWORD
	s_cmp_lg_u32 s5, 0
	s_barrier
	s_cbranch_scc0 .LBB27_4
.LBB27_2:                               ; =>This Inner Loop Header: Depth=1
	v_lshrrev_b32_e32 v5, 16, v2
	v_mov_b32_e32 v3, 0x7b
	ds_write_b8 v0, v5
	s_waitcnt lgkmcnt(0)
	s_barrier
	s_and_saveexec_b64 s[0:1], vcc
	s_cbranch_execz .LBB27_1
; %bb.3:                                ;   in Loop: Header=BB27_2 Depth=1
	ds_read_u8 v3, v1
	s_branch .LBB27_1
.LBB27_4:
	s_add_u32 s0, s2, s4
	s_addc_u32 s1, s3, 0
	v_mov_b32_e32 v1, s1
	v_add_co_u32_e32 v0, vcc, s0, v0
	v_addc_co_u32_e32 v1, vcc, 0, v1, vcc
	global_store_byte v[0:1], v3, off
	global_store_byte v[0:1], v4, off offset:256
	global_store_byte v[0:1], v5, off offset:512
	s_endpgm
	.section	.rodata,"a",@progbits
	.p2align	6, 0x0
	.amdhsa_kernel _Z6kernelI10flag_headshLj256ELj3ELb1ELj100EEvPKT0_PS1_
		.amdhsa_group_segment_fixed_size 512
		.amdhsa_private_segment_fixed_size 0
		.amdhsa_kernarg_size 16
		.amdhsa_user_sgpr_count 6
		.amdhsa_user_sgpr_private_segment_buffer 1
		.amdhsa_user_sgpr_dispatch_ptr 0
		.amdhsa_user_sgpr_queue_ptr 0
		.amdhsa_user_sgpr_kernarg_segment_ptr 1
		.amdhsa_user_sgpr_dispatch_id 0
		.amdhsa_user_sgpr_flat_scratch_init 0
		.amdhsa_user_sgpr_private_segment_size 0
		.amdhsa_uses_dynamic_stack 0
		.amdhsa_system_sgpr_private_segment_wavefront_offset 0
		.amdhsa_system_sgpr_workgroup_id_x 1
		.amdhsa_system_sgpr_workgroup_id_y 0
		.amdhsa_system_sgpr_workgroup_id_z 0
		.amdhsa_system_sgpr_workgroup_info 0
		.amdhsa_system_vgpr_workitem_id 0
		.amdhsa_next_free_vgpr 8
		.amdhsa_next_free_sgpr 7
		.amdhsa_reserve_vcc 1
		.amdhsa_reserve_flat_scratch 0
		.amdhsa_float_round_mode_32 0
		.amdhsa_float_round_mode_16_64 0
		.amdhsa_float_denorm_mode_32 3
		.amdhsa_float_denorm_mode_16_64 3
		.amdhsa_dx10_clamp 1
		.amdhsa_ieee_mode 1
		.amdhsa_fp16_overflow 0
		.amdhsa_exception_fp_ieee_invalid_op 0
		.amdhsa_exception_fp_denorm_src 0
		.amdhsa_exception_fp_ieee_div_zero 0
		.amdhsa_exception_fp_ieee_overflow 0
		.amdhsa_exception_fp_ieee_underflow 0
		.amdhsa_exception_fp_ieee_inexact 0
		.amdhsa_exception_int_div_zero 0
	.end_amdhsa_kernel
	.section	.text._Z6kernelI10flag_headshLj256ELj3ELb1ELj100EEvPKT0_PS1_,"axG",@progbits,_Z6kernelI10flag_headshLj256ELj3ELb1ELj100EEvPKT0_PS1_,comdat
.Lfunc_end27:
	.size	_Z6kernelI10flag_headshLj256ELj3ELb1ELj100EEvPKT0_PS1_, .Lfunc_end27-_Z6kernelI10flag_headshLj256ELj3ELb1ELj100EEvPKT0_PS1_
                                        ; -- End function
	.set _Z6kernelI10flag_headshLj256ELj3ELb1ELj100EEvPKT0_PS1_.num_vgpr, 8
	.set _Z6kernelI10flag_headshLj256ELj3ELb1ELj100EEvPKT0_PS1_.num_agpr, 0
	.set _Z6kernelI10flag_headshLj256ELj3ELb1ELj100EEvPKT0_PS1_.numbered_sgpr, 7
	.set _Z6kernelI10flag_headshLj256ELj3ELb1ELj100EEvPKT0_PS1_.num_named_barrier, 0
	.set _Z6kernelI10flag_headshLj256ELj3ELb1ELj100EEvPKT0_PS1_.private_seg_size, 0
	.set _Z6kernelI10flag_headshLj256ELj3ELb1ELj100EEvPKT0_PS1_.uses_vcc, 1
	.set _Z6kernelI10flag_headshLj256ELj3ELb1ELj100EEvPKT0_PS1_.uses_flat_scratch, 0
	.set _Z6kernelI10flag_headshLj256ELj3ELb1ELj100EEvPKT0_PS1_.has_dyn_sized_stack, 0
	.set _Z6kernelI10flag_headshLj256ELj3ELb1ELj100EEvPKT0_PS1_.has_recursion, 0
	.set _Z6kernelI10flag_headshLj256ELj3ELb1ELj100EEvPKT0_PS1_.has_indirect_call, 0
	.section	.AMDGPU.csdata,"",@progbits
; Kernel info:
; codeLenInByte = 312
; TotalNumSgprs: 11
; NumVgprs: 8
; ScratchSize: 0
; MemoryBound: 0
; FloatMode: 240
; IeeeMode: 1
; LDSByteSize: 512 bytes/workgroup (compile time only)
; SGPRBlocks: 1
; VGPRBlocks: 1
; NumSGPRsForWavesPerEU: 11
; NumVGPRsForWavesPerEU: 8
; Occupancy: 10
; WaveLimiterHint : 1
; COMPUTE_PGM_RSRC2:SCRATCH_EN: 0
; COMPUTE_PGM_RSRC2:USER_SGPR: 6
; COMPUTE_PGM_RSRC2:TRAP_HANDLER: 0
; COMPUTE_PGM_RSRC2:TGID_X_EN: 1
; COMPUTE_PGM_RSRC2:TGID_Y_EN: 0
; COMPUTE_PGM_RSRC2:TGID_Z_EN: 0
; COMPUTE_PGM_RSRC2:TIDIG_COMP_CNT: 0
	.section	.text._Z6kernelI10flag_headshLj256ELj4ELb1ELj100EEvPKT0_PS1_,"axG",@progbits,_Z6kernelI10flag_headshLj256ELj4ELb1ELj100EEvPKT0_PS1_,comdat
	.protected	_Z6kernelI10flag_headshLj256ELj4ELb1ELj100EEvPKT0_PS1_ ; -- Begin function _Z6kernelI10flag_headshLj256ELj4ELb1ELj100EEvPKT0_PS1_
	.globl	_Z6kernelI10flag_headshLj256ELj4ELb1ELj100EEvPKT0_PS1_
	.p2align	8
	.type	_Z6kernelI10flag_headshLj256ELj4ELb1ELj100EEvPKT0_PS1_,@function
_Z6kernelI10flag_headshLj256ELj4ELb1ELj100EEvPKT0_PS1_: ; @_Z6kernelI10flag_headshLj256ELj4ELb1ELj100EEvPKT0_PS1_
; %bb.0:
	s_load_dwordx4 s[0:3], s[4:5], 0x0
	s_lshl_b32 s4, s6, 10
	s_movk_i32 s5, 0x64
	v_cmp_ne_u32_e32 vcc, 0, v0
	v_add_u32_e32 v1, -1, v0
	s_waitcnt lgkmcnt(0)
	s_add_u32 s0, s0, s4
	s_addc_u32 s1, s1, 0
	global_load_ubyte v2, v0, s[0:1] offset:256
	global_load_ubyte v3, v0, s[0:1] offset:512
	global_load_ubyte v4, v0, s[0:1]
	global_load_ubyte v5, v0, s[0:1] offset:768
	s_mov_b32 s0, 0xc0c0004
	s_movk_i32 s6, 0xff
	s_waitcnt vmcnt(1)
	v_perm_b32 v2, v4, v2, s0
	s_waitcnt vmcnt(0)
	v_perm_b32 v3, v3, v5, s0
	v_lshl_or_b32 v2, v3, 16, v2
	s_branch .LBB28_2
.LBB28_1:                               ;   in Loop: Header=BB28_2 Depth=1
	s_or_b64 exec, exec, s[0:1]
	v_and_b32_sdwa v5, v2, s6 dst_sel:DWORD dst_unused:UNUSED_PAD src0_sel:WORD_1 src1_sel:DWORD
	v_cmp_eq_u16_e64 s[0:1], v5, v3
	v_lshrrev_b32_e32 v6, 8, v2
	v_cndmask_b32_e64 v7, 0, 1, s[0:1]
	v_cmp_eq_u16_sdwa s[0:1], v6, v5 src0_sel:BYTE_0 src1_sel:DWORD
	v_cndmask_b32_e64 v8, 0, 1, s[0:1]
	v_cmp_eq_u16_sdwa s[0:1], v2, v6 src0_sel:BYTE_0 src1_sel:BYTE_0
	v_cndmask_b32_e64 v5, 0, 1, s[0:1]
	s_waitcnt lgkmcnt(0)
	v_cmp_eq_u16_sdwa s[0:1], v4, v2 src0_sel:BYTE_0 src1_sel:BYTE_0
	v_cndmask_b32_e64 v4, 0, 1, s[0:1]
	v_add_u16_e32 v5, v6, v5
	v_add_u16_e32 v3, v3, v7
	;; [unrolled: 1-line block ×3, first 2 shown]
	v_add_u16_sdwa v6, v2, v8 dst_sel:DWORD dst_unused:UNUSED_PAD src0_sel:WORD_1 src1_sel:DWORD
	v_lshlrev_b16_e32 v2, 8, v5
	v_lshlrev_b16_e32 v7, 8, v3
	v_or_b32_sdwa v2, v4, v2 dst_sel:DWORD dst_unused:UNUSED_PAD src0_sel:BYTE_0 src1_sel:DWORD
	v_or_b32_sdwa v7, v6, v7 dst_sel:WORD_1 dst_unused:UNUSED_PAD src0_sel:BYTE_0 src1_sel:DWORD
	s_add_i32 s5, s5, -1
	v_or_b32_sdwa v2, v2, v7 dst_sel:DWORD dst_unused:UNUSED_PAD src0_sel:WORD_0 src1_sel:DWORD
	s_cmp_lg_u32 s5, 0
	s_barrier
	s_cbranch_scc0 .LBB28_4
.LBB28_2:                               ; =>This Inner Loop Header: Depth=1
	v_lshrrev_b32_e32 v3, 24, v2
	v_mov_b32_e32 v4, 0x7b
	ds_write_b8 v0, v3
	s_waitcnt lgkmcnt(0)
	s_barrier
	s_and_saveexec_b64 s[0:1], vcc
	s_cbranch_execz .LBB28_1
; %bb.3:                                ;   in Loop: Header=BB28_2 Depth=1
	ds_read_u8 v4, v1
	s_branch .LBB28_1
.LBB28_4:
	s_add_u32 s0, s2, s4
	s_addc_u32 s1, s3, 0
	v_mov_b32_e32 v1, s1
	v_add_co_u32_e32 v0, vcc, s0, v0
	v_addc_co_u32_e32 v1, vcc, 0, v1, vcc
	global_store_byte v[0:1], v4, off
	global_store_byte v[0:1], v5, off offset:256
	global_store_byte v[0:1], v6, off offset:512
	;; [unrolled: 1-line block ×3, first 2 shown]
	s_endpgm
	.section	.rodata,"a",@progbits
	.p2align	6, 0x0
	.amdhsa_kernel _Z6kernelI10flag_headshLj256ELj4ELb1ELj100EEvPKT0_PS1_
		.amdhsa_group_segment_fixed_size 512
		.amdhsa_private_segment_fixed_size 0
		.amdhsa_kernarg_size 16
		.amdhsa_user_sgpr_count 6
		.amdhsa_user_sgpr_private_segment_buffer 1
		.amdhsa_user_sgpr_dispatch_ptr 0
		.amdhsa_user_sgpr_queue_ptr 0
		.amdhsa_user_sgpr_kernarg_segment_ptr 1
		.amdhsa_user_sgpr_dispatch_id 0
		.amdhsa_user_sgpr_flat_scratch_init 0
		.amdhsa_user_sgpr_private_segment_size 0
		.amdhsa_uses_dynamic_stack 0
		.amdhsa_system_sgpr_private_segment_wavefront_offset 0
		.amdhsa_system_sgpr_workgroup_id_x 1
		.amdhsa_system_sgpr_workgroup_id_y 0
		.amdhsa_system_sgpr_workgroup_id_z 0
		.amdhsa_system_sgpr_workgroup_info 0
		.amdhsa_system_vgpr_workitem_id 0
		.amdhsa_next_free_vgpr 9
		.amdhsa_next_free_sgpr 7
		.amdhsa_reserve_vcc 1
		.amdhsa_reserve_flat_scratch 0
		.amdhsa_float_round_mode_32 0
		.amdhsa_float_round_mode_16_64 0
		.amdhsa_float_denorm_mode_32 3
		.amdhsa_float_denorm_mode_16_64 3
		.amdhsa_dx10_clamp 1
		.amdhsa_ieee_mode 1
		.amdhsa_fp16_overflow 0
		.amdhsa_exception_fp_ieee_invalid_op 0
		.amdhsa_exception_fp_denorm_src 0
		.amdhsa_exception_fp_ieee_div_zero 0
		.amdhsa_exception_fp_ieee_overflow 0
		.amdhsa_exception_fp_ieee_underflow 0
		.amdhsa_exception_fp_ieee_inexact 0
		.amdhsa_exception_int_div_zero 0
	.end_amdhsa_kernel
	.section	.text._Z6kernelI10flag_headshLj256ELj4ELb1ELj100EEvPKT0_PS1_,"axG",@progbits,_Z6kernelI10flag_headshLj256ELj4ELb1ELj100EEvPKT0_PS1_,comdat
.Lfunc_end28:
	.size	_Z6kernelI10flag_headshLj256ELj4ELb1ELj100EEvPKT0_PS1_, .Lfunc_end28-_Z6kernelI10flag_headshLj256ELj4ELb1ELj100EEvPKT0_PS1_
                                        ; -- End function
	.set _Z6kernelI10flag_headshLj256ELj4ELb1ELj100EEvPKT0_PS1_.num_vgpr, 9
	.set _Z6kernelI10flag_headshLj256ELj4ELb1ELj100EEvPKT0_PS1_.num_agpr, 0
	.set _Z6kernelI10flag_headshLj256ELj4ELb1ELj100EEvPKT0_PS1_.numbered_sgpr, 7
	.set _Z6kernelI10flag_headshLj256ELj4ELb1ELj100EEvPKT0_PS1_.num_named_barrier, 0
	.set _Z6kernelI10flag_headshLj256ELj4ELb1ELj100EEvPKT0_PS1_.private_seg_size, 0
	.set _Z6kernelI10flag_headshLj256ELj4ELb1ELj100EEvPKT0_PS1_.uses_vcc, 1
	.set _Z6kernelI10flag_headshLj256ELj4ELb1ELj100EEvPKT0_PS1_.uses_flat_scratch, 0
	.set _Z6kernelI10flag_headshLj256ELj4ELb1ELj100EEvPKT0_PS1_.has_dyn_sized_stack, 0
	.set _Z6kernelI10flag_headshLj256ELj4ELb1ELj100EEvPKT0_PS1_.has_recursion, 0
	.set _Z6kernelI10flag_headshLj256ELj4ELb1ELj100EEvPKT0_PS1_.has_indirect_call, 0
	.section	.AMDGPU.csdata,"",@progbits
; Kernel info:
; codeLenInByte = 372
; TotalNumSgprs: 11
; NumVgprs: 9
; ScratchSize: 0
; MemoryBound: 0
; FloatMode: 240
; IeeeMode: 1
; LDSByteSize: 512 bytes/workgroup (compile time only)
; SGPRBlocks: 1
; VGPRBlocks: 2
; NumSGPRsForWavesPerEU: 11
; NumVGPRsForWavesPerEU: 9
; Occupancy: 10
; WaveLimiterHint : 1
; COMPUTE_PGM_RSRC2:SCRATCH_EN: 0
; COMPUTE_PGM_RSRC2:USER_SGPR: 6
; COMPUTE_PGM_RSRC2:TRAP_HANDLER: 0
; COMPUTE_PGM_RSRC2:TGID_X_EN: 1
; COMPUTE_PGM_RSRC2:TGID_Y_EN: 0
; COMPUTE_PGM_RSRC2:TGID_Z_EN: 0
; COMPUTE_PGM_RSRC2:TIDIG_COMP_CNT: 0
	.section	.text._Z6kernelI10flag_headshLj256ELj8ELb1ELj100EEvPKT0_PS1_,"axG",@progbits,_Z6kernelI10flag_headshLj256ELj8ELb1ELj100EEvPKT0_PS1_,comdat
	.protected	_Z6kernelI10flag_headshLj256ELj8ELb1ELj100EEvPKT0_PS1_ ; -- Begin function _Z6kernelI10flag_headshLj256ELj8ELb1ELj100EEvPKT0_PS1_
	.globl	_Z6kernelI10flag_headshLj256ELj8ELb1ELj100EEvPKT0_PS1_
	.p2align	8
	.type	_Z6kernelI10flag_headshLj256ELj8ELb1ELj100EEvPKT0_PS1_,@function
_Z6kernelI10flag_headshLj256ELj8ELb1ELj100EEvPKT0_PS1_: ; @_Z6kernelI10flag_headshLj256ELj8ELb1ELj100EEvPKT0_PS1_
; %bb.0:
	s_load_dwordx4 s[0:3], s[4:5], 0x0
	s_lshl_b32 s4, s6, 11
	s_movk_i32 s5, 0x64
	v_cmp_ne_u32_e32 vcc, 0, v0
	v_add_u32_e32 v3, -1, v0
	s_waitcnt lgkmcnt(0)
	s_add_u32 s0, s0, s4
	s_addc_u32 s1, s1, 0
	global_load_ubyte v1, v0, s[0:1] offset:256
	global_load_ubyte v2, v0, s[0:1] offset:1536
	;; [unrolled: 1-line block ×4, first 2 shown]
	global_load_ubyte v6, v0, s[0:1]
	global_load_ubyte v7, v0, s[0:1] offset:768
	global_load_ubyte v8, v0, s[0:1] offset:1280
	;; [unrolled: 1-line block ×3, first 2 shown]
	s_mov_b32 s0, 0xc0c0004
	s_movk_i32 s6, 0xff
	s_waitcnt vmcnt(3)
	v_perm_b32 v1, v6, v1, s0
	s_waitcnt vmcnt(2)
	v_perm_b32 v5, v5, v7, s0
	;; [unrolled: 2-line block ×4, first 2 shown]
	v_lshl_or_b32 v1, v5, 16, v1
	v_lshl_or_b32 v2, v2, 16, v4
	s_branch .LBB29_2
.LBB29_1:                               ;   in Loop: Header=BB29_2 Depth=1
	s_or_b64 exec, exec, s[0:1]
	v_lshrrev_b64 v[8:9], 24, v[1:2]
	v_and_b32_sdwa v9, v2, s6 dst_sel:DWORD dst_unused:UNUSED_PAD src0_sel:WORD_1 src1_sel:DWORD
	v_lshrrev_b32_e32 v10, 8, v2
	v_cmp_eq_u16_e64 s[0:1], v9, v4
	v_cndmask_b32_e64 v12, 0, 1, s[0:1]
	v_cmp_eq_u16_sdwa s[0:1], v10, v9 src0_sel:BYTE_0 src1_sel:DWORD
	v_cndmask_b32_e64 v11, 0, 1, s[0:1]
	v_cmp_eq_u16_sdwa s[0:1], v2, v10 src0_sel:BYTE_0 src1_sel:BYTE_0
	v_and_b32_sdwa v7, v1, s6 dst_sel:DWORD dst_unused:UNUSED_PAD src0_sel:WORD_1 src1_sel:DWORD
	v_cndmask_b32_e64 v13, 0, 1, s[0:1]
	v_cmp_eq_u16_sdwa s[0:1], v8, v2 src0_sel:BYTE_0 src1_sel:BYTE_0
	v_lshrrev_b32_e32 v6, 8, v1
	v_cndmask_b32_e64 v9, 0, 1, s[0:1]
	v_cmp_eq_u16_sdwa s[0:1], v7, v8 src0_sel:DWORD src1_sel:BYTE_0
	v_cndmask_b32_e64 v14, 0, 1, s[0:1]
	v_cmp_eq_u16_sdwa s[0:1], v6, v7 src0_sel:BYTE_0 src1_sel:DWORD
	v_cndmask_b32_e64 v7, 0, 1, s[0:1]
	v_cmp_eq_u16_sdwa s[0:1], v1, v6 src0_sel:BYTE_0 src1_sel:BYTE_0
	v_cndmask_b32_e64 v15, 0, 1, s[0:1]
	s_waitcnt lgkmcnt(0)
	v_cmp_eq_u16_sdwa s[0:1], v5, v1 src0_sel:BYTE_0 src1_sel:BYTE_0
	v_cndmask_b32_e64 v5, 0, 1, s[0:1]
	v_add_u16_e32 v6, v6, v15
	v_add_u16_e32 v8, v8, v14
	;; [unrolled: 1-line block ×3, first 2 shown]
	v_add_u16_sdwa v7, v1, v7 dst_sel:DWORD dst_unused:UNUSED_PAD src0_sel:WORD_1 src1_sel:DWORD
	v_add_u16_e32 v9, v2, v9
	v_add_u16_sdwa v11, v2, v11 dst_sel:DWORD dst_unused:UNUSED_PAD src0_sel:WORD_1 src1_sel:DWORD
	v_lshlrev_b16_e32 v1, 8, v6
	v_lshlrev_b16_e32 v2, 8, v8
	v_add_u16_e32 v10, v10, v13
	v_add_u16_e32 v4, v4, v12
	v_or_b32_sdwa v1, v5, v1 dst_sel:DWORD dst_unused:UNUSED_PAD src0_sel:BYTE_0 src1_sel:DWORD
	v_or_b32_sdwa v2, v7, v2 dst_sel:WORD_1 dst_unused:UNUSED_PAD src0_sel:BYTE_0 src1_sel:DWORD
	v_or_b32_sdwa v1, v1, v2 dst_sel:DWORD dst_unused:UNUSED_PAD src0_sel:WORD_0 src1_sel:DWORD
	v_lshlrev_b16_e32 v2, 8, v10
	v_lshlrev_b16_e32 v12, 8, v4
	v_or_b32_sdwa v2, v9, v2 dst_sel:DWORD dst_unused:UNUSED_PAD src0_sel:BYTE_0 src1_sel:DWORD
	v_or_b32_sdwa v12, v11, v12 dst_sel:WORD_1 dst_unused:UNUSED_PAD src0_sel:BYTE_0 src1_sel:DWORD
	s_add_i32 s5, s5, -1
	s_cmp_lg_u32 s5, 0
	v_or_b32_sdwa v2, v2, v12 dst_sel:DWORD dst_unused:UNUSED_PAD src0_sel:WORD_0 src1_sel:DWORD
	s_barrier
	s_cbranch_scc0 .LBB29_4
.LBB29_2:                               ; =>This Inner Loop Header: Depth=1
	v_lshrrev_b32_e32 v4, 24, v2
	v_mov_b32_e32 v5, 0x7b
	ds_write_b8 v0, v4
	s_waitcnt lgkmcnt(0)
	s_barrier
	s_and_saveexec_b64 s[0:1], vcc
	s_cbranch_execz .LBB29_1
; %bb.3:                                ;   in Loop: Header=BB29_2 Depth=1
	ds_read_u8 v5, v3
	s_branch .LBB29_1
.LBB29_4:
	s_add_u32 s0, s2, s4
	s_addc_u32 s1, s3, 0
	v_mov_b32_e32 v1, s1
	v_add_co_u32_e32 v0, vcc, s0, v0
	v_addc_co_u32_e32 v1, vcc, 0, v1, vcc
	global_store_byte v[0:1], v5, off
	global_store_byte v[0:1], v6, off offset:256
	global_store_byte v[0:1], v7, off offset:512
	;; [unrolled: 1-line block ×7, first 2 shown]
	s_endpgm
	.section	.rodata,"a",@progbits
	.p2align	6, 0x0
	.amdhsa_kernel _Z6kernelI10flag_headshLj256ELj8ELb1ELj100EEvPKT0_PS1_
		.amdhsa_group_segment_fixed_size 512
		.amdhsa_private_segment_fixed_size 0
		.amdhsa_kernarg_size 16
		.amdhsa_user_sgpr_count 6
		.amdhsa_user_sgpr_private_segment_buffer 1
		.amdhsa_user_sgpr_dispatch_ptr 0
		.amdhsa_user_sgpr_queue_ptr 0
		.amdhsa_user_sgpr_kernarg_segment_ptr 1
		.amdhsa_user_sgpr_dispatch_id 0
		.amdhsa_user_sgpr_flat_scratch_init 0
		.amdhsa_user_sgpr_private_segment_size 0
		.amdhsa_uses_dynamic_stack 0
		.amdhsa_system_sgpr_private_segment_wavefront_offset 0
		.amdhsa_system_sgpr_workgroup_id_x 1
		.amdhsa_system_sgpr_workgroup_id_y 0
		.amdhsa_system_sgpr_workgroup_id_z 0
		.amdhsa_system_sgpr_workgroup_info 0
		.amdhsa_system_vgpr_workitem_id 0
		.amdhsa_next_free_vgpr 16
		.amdhsa_next_free_sgpr 7
		.amdhsa_reserve_vcc 1
		.amdhsa_reserve_flat_scratch 0
		.amdhsa_float_round_mode_32 0
		.amdhsa_float_round_mode_16_64 0
		.amdhsa_float_denorm_mode_32 3
		.amdhsa_float_denorm_mode_16_64 3
		.amdhsa_dx10_clamp 1
		.amdhsa_ieee_mode 1
		.amdhsa_fp16_overflow 0
		.amdhsa_exception_fp_ieee_invalid_op 0
		.amdhsa_exception_fp_denorm_src 0
		.amdhsa_exception_fp_ieee_div_zero 0
		.amdhsa_exception_fp_ieee_overflow 0
		.amdhsa_exception_fp_ieee_underflow 0
		.amdhsa_exception_fp_ieee_inexact 0
		.amdhsa_exception_int_div_zero 0
	.end_amdhsa_kernel
	.section	.text._Z6kernelI10flag_headshLj256ELj8ELb1ELj100EEvPKT0_PS1_,"axG",@progbits,_Z6kernelI10flag_headshLj256ELj8ELb1ELj100EEvPKT0_PS1_,comdat
.Lfunc_end29:
	.size	_Z6kernelI10flag_headshLj256ELj8ELb1ELj100EEvPKT0_PS1_, .Lfunc_end29-_Z6kernelI10flag_headshLj256ELj8ELb1ELj100EEvPKT0_PS1_
                                        ; -- End function
	.set _Z6kernelI10flag_headshLj256ELj8ELb1ELj100EEvPKT0_PS1_.num_vgpr, 16
	.set _Z6kernelI10flag_headshLj256ELj8ELb1ELj100EEvPKT0_PS1_.num_agpr, 0
	.set _Z6kernelI10flag_headshLj256ELj8ELb1ELj100EEvPKT0_PS1_.numbered_sgpr, 7
	.set _Z6kernelI10flag_headshLj256ELj8ELb1ELj100EEvPKT0_PS1_.num_named_barrier, 0
	.set _Z6kernelI10flag_headshLj256ELj8ELb1ELj100EEvPKT0_PS1_.private_seg_size, 0
	.set _Z6kernelI10flag_headshLj256ELj8ELb1ELj100EEvPKT0_PS1_.uses_vcc, 1
	.set _Z6kernelI10flag_headshLj256ELj8ELb1ELj100EEvPKT0_PS1_.uses_flat_scratch, 0
	.set _Z6kernelI10flag_headshLj256ELj8ELb1ELj100EEvPKT0_PS1_.has_dyn_sized_stack, 0
	.set _Z6kernelI10flag_headshLj256ELj8ELb1ELj100EEvPKT0_PS1_.has_recursion, 0
	.set _Z6kernelI10flag_headshLj256ELj8ELb1ELj100EEvPKT0_PS1_.has_indirect_call, 0
	.section	.AMDGPU.csdata,"",@progbits
; Kernel info:
; codeLenInByte = 604
; TotalNumSgprs: 11
; NumVgprs: 16
; ScratchSize: 0
; MemoryBound: 0
; FloatMode: 240
; IeeeMode: 1
; LDSByteSize: 512 bytes/workgroup (compile time only)
; SGPRBlocks: 1
; VGPRBlocks: 3
; NumSGPRsForWavesPerEU: 11
; NumVGPRsForWavesPerEU: 16
; Occupancy: 10
; WaveLimiterHint : 1
; COMPUTE_PGM_RSRC2:SCRATCH_EN: 0
; COMPUTE_PGM_RSRC2:USER_SGPR: 6
; COMPUTE_PGM_RSRC2:TRAP_HANDLER: 0
; COMPUTE_PGM_RSRC2:TGID_X_EN: 1
; COMPUTE_PGM_RSRC2:TGID_Y_EN: 0
; COMPUTE_PGM_RSRC2:TGID_Z_EN: 0
; COMPUTE_PGM_RSRC2:TIDIG_COMP_CNT: 0
	.section	.text._Z6kernelI10flag_headsxLj256ELj1ELb0ELj100EEvPKT0_PS1_,"axG",@progbits,_Z6kernelI10flag_headsxLj256ELj1ELb0ELj100EEvPKT0_PS1_,comdat
	.protected	_Z6kernelI10flag_headsxLj256ELj1ELb0ELj100EEvPKT0_PS1_ ; -- Begin function _Z6kernelI10flag_headsxLj256ELj1ELb0ELj100EEvPKT0_PS1_
	.globl	_Z6kernelI10flag_headsxLj256ELj1ELb0ELj100EEvPKT0_PS1_
	.p2align	8
	.type	_Z6kernelI10flag_headsxLj256ELj1ELb0ELj100EEvPKT0_PS1_,@function
_Z6kernelI10flag_headsxLj256ELj1ELb0ELj100EEvPKT0_PS1_: ; @_Z6kernelI10flag_headsxLj256ELj1ELb0ELj100EEvPKT0_PS1_
; %bb.0:
	s_load_dwordx4 s[0:3], s[4:5], 0x0
	s_lshl_b32 s4, s6, 8
	s_mov_b32 s5, 0
	s_lshl_b64 s[6:7], s[4:5], 3
	v_lshlrev_b32_e32 v5, 3, v0
	s_waitcnt lgkmcnt(0)
	s_add_u32 s0, s0, s6
	s_addc_u32 s1, s1, s7
	global_load_dwordx2 v[1:2], v5, s[0:1]
	v_cmp_ne_u32_e32 vcc, 0, v0
	v_add_u32_e32 v6, -8, v5
	s_movk_i32 s4, 0x64
	s_branch .LBB30_2
.LBB30_1:                               ;   in Loop: Header=BB30_2 Depth=1
	s_or_b64 exec, exec, s[8:9]
	v_add_co_u32_e64 v1, s[0:1], v3, v1
	s_add_i32 s4, s4, -1
	v_addc_co_u32_e64 v2, s[0:1], v4, v2, s[0:1]
	s_cmp_lg_u32 s4, 0
	s_barrier
	s_cbranch_scc0 .LBB30_4
.LBB30_2:                               ; =>This Inner Loop Header: Depth=1
	v_mov_b32_e32 v3, 1
	v_mov_b32_e32 v4, 0
	s_waitcnt vmcnt(0)
	ds_write_b64 v5, v[1:2]
	s_waitcnt lgkmcnt(0)
	s_barrier
	s_and_saveexec_b64 s[8:9], vcc
	s_cbranch_execz .LBB30_1
; %bb.3:                                ;   in Loop: Header=BB30_2 Depth=1
	ds_read_b64 v[3:4], v6
	s_waitcnt lgkmcnt(0)
	v_cmp_eq_u64_e64 s[0:1], v[3:4], v[1:2]
	v_mov_b32_e32 v4, s5
	v_cndmask_b32_e64 v3, 0, 1, s[0:1]
	s_branch .LBB30_1
.LBB30_4:
	s_add_u32 s0, s2, s6
	s_addc_u32 s1, s3, s7
	v_lshlrev_b32_e32 v0, 3, v0
	global_store_dwordx2 v0, v[1:2], s[0:1]
	s_endpgm
	.section	.rodata,"a",@progbits
	.p2align	6, 0x0
	.amdhsa_kernel _Z6kernelI10flag_headsxLj256ELj1ELb0ELj100EEvPKT0_PS1_
		.amdhsa_group_segment_fixed_size 4096
		.amdhsa_private_segment_fixed_size 0
		.amdhsa_kernarg_size 16
		.amdhsa_user_sgpr_count 6
		.amdhsa_user_sgpr_private_segment_buffer 1
		.amdhsa_user_sgpr_dispatch_ptr 0
		.amdhsa_user_sgpr_queue_ptr 0
		.amdhsa_user_sgpr_kernarg_segment_ptr 1
		.amdhsa_user_sgpr_dispatch_id 0
		.amdhsa_user_sgpr_flat_scratch_init 0
		.amdhsa_user_sgpr_private_segment_size 0
		.amdhsa_uses_dynamic_stack 0
		.amdhsa_system_sgpr_private_segment_wavefront_offset 0
		.amdhsa_system_sgpr_workgroup_id_x 1
		.amdhsa_system_sgpr_workgroup_id_y 0
		.amdhsa_system_sgpr_workgroup_id_z 0
		.amdhsa_system_sgpr_workgroup_info 0
		.amdhsa_system_vgpr_workitem_id 0
		.amdhsa_next_free_vgpr 7
		.amdhsa_next_free_sgpr 10
		.amdhsa_reserve_vcc 1
		.amdhsa_reserve_flat_scratch 0
		.amdhsa_float_round_mode_32 0
		.amdhsa_float_round_mode_16_64 0
		.amdhsa_float_denorm_mode_32 3
		.amdhsa_float_denorm_mode_16_64 3
		.amdhsa_dx10_clamp 1
		.amdhsa_ieee_mode 1
		.amdhsa_fp16_overflow 0
		.amdhsa_exception_fp_ieee_invalid_op 0
		.amdhsa_exception_fp_denorm_src 0
		.amdhsa_exception_fp_ieee_div_zero 0
		.amdhsa_exception_fp_ieee_overflow 0
		.amdhsa_exception_fp_ieee_underflow 0
		.amdhsa_exception_fp_ieee_inexact 0
		.amdhsa_exception_int_div_zero 0
	.end_amdhsa_kernel
	.section	.text._Z6kernelI10flag_headsxLj256ELj1ELb0ELj100EEvPKT0_PS1_,"axG",@progbits,_Z6kernelI10flag_headsxLj256ELj1ELb0ELj100EEvPKT0_PS1_,comdat
.Lfunc_end30:
	.size	_Z6kernelI10flag_headsxLj256ELj1ELb0ELj100EEvPKT0_PS1_, .Lfunc_end30-_Z6kernelI10flag_headsxLj256ELj1ELb0ELj100EEvPKT0_PS1_
                                        ; -- End function
	.set _Z6kernelI10flag_headsxLj256ELj1ELb0ELj100EEvPKT0_PS1_.num_vgpr, 7
	.set _Z6kernelI10flag_headsxLj256ELj1ELb0ELj100EEvPKT0_PS1_.num_agpr, 0
	.set _Z6kernelI10flag_headsxLj256ELj1ELb0ELj100EEvPKT0_PS1_.numbered_sgpr, 10
	.set _Z6kernelI10flag_headsxLj256ELj1ELb0ELj100EEvPKT0_PS1_.num_named_barrier, 0
	.set _Z6kernelI10flag_headsxLj256ELj1ELb0ELj100EEvPKT0_PS1_.private_seg_size, 0
	.set _Z6kernelI10flag_headsxLj256ELj1ELb0ELj100EEvPKT0_PS1_.uses_vcc, 1
	.set _Z6kernelI10flag_headsxLj256ELj1ELb0ELj100EEvPKT0_PS1_.uses_flat_scratch, 0
	.set _Z6kernelI10flag_headsxLj256ELj1ELb0ELj100EEvPKT0_PS1_.has_dyn_sized_stack, 0
	.set _Z6kernelI10flag_headsxLj256ELj1ELb0ELj100EEvPKT0_PS1_.has_recursion, 0
	.set _Z6kernelI10flag_headsxLj256ELj1ELb0ELj100EEvPKT0_PS1_.has_indirect_call, 0
	.section	.AMDGPU.csdata,"",@progbits
; Kernel info:
; codeLenInByte = 192
; TotalNumSgprs: 14
; NumVgprs: 7
; ScratchSize: 0
; MemoryBound: 0
; FloatMode: 240
; IeeeMode: 1
; LDSByteSize: 4096 bytes/workgroup (compile time only)
; SGPRBlocks: 1
; VGPRBlocks: 1
; NumSGPRsForWavesPerEU: 14
; NumVGPRsForWavesPerEU: 7
; Occupancy: 10
; WaveLimiterHint : 0
; COMPUTE_PGM_RSRC2:SCRATCH_EN: 0
; COMPUTE_PGM_RSRC2:USER_SGPR: 6
; COMPUTE_PGM_RSRC2:TRAP_HANDLER: 0
; COMPUTE_PGM_RSRC2:TGID_X_EN: 1
; COMPUTE_PGM_RSRC2:TGID_Y_EN: 0
; COMPUTE_PGM_RSRC2:TGID_Z_EN: 0
; COMPUTE_PGM_RSRC2:TIDIG_COMP_CNT: 0
	.section	.text._Z6kernelI10flag_headsxLj256ELj2ELb0ELj100EEvPKT0_PS1_,"axG",@progbits,_Z6kernelI10flag_headsxLj256ELj2ELb0ELj100EEvPKT0_PS1_,comdat
	.protected	_Z6kernelI10flag_headsxLj256ELj2ELb0ELj100EEvPKT0_PS1_ ; -- Begin function _Z6kernelI10flag_headsxLj256ELj2ELb0ELj100EEvPKT0_PS1_
	.globl	_Z6kernelI10flag_headsxLj256ELj2ELb0ELj100EEvPKT0_PS1_
	.p2align	8
	.type	_Z6kernelI10flag_headsxLj256ELj2ELb0ELj100EEvPKT0_PS1_,@function
_Z6kernelI10flag_headsxLj256ELj2ELb0ELj100EEvPKT0_PS1_: ; @_Z6kernelI10flag_headsxLj256ELj2ELb0ELj100EEvPKT0_PS1_
; %bb.0:
	s_load_dwordx4 s[8:11], s[4:5], 0x0
	s_lshl_b32 s0, s6, 9
	s_mov_b32 s1, 0
	s_lshl_b64 s[4:5], s[0:1], 3
	v_lshlrev_b32_e32 v5, 3, v0
	s_waitcnt lgkmcnt(0)
	s_add_u32 s0, s8, s4
	s_addc_u32 s1, s9, s5
	global_load_dwordx2 v[1:2], v5, s[0:1]
	global_load_dwordx2 v[3:4], v5, s[0:1] offset:2048
	v_cmp_ne_u32_e64 s[0:1], 0, v0
	v_add_u32_e32 v6, -8, v5
	s_movk_i32 s8, 0x64
	s_branch .LBB31_2
.LBB31_1:                               ;   in Loop: Header=BB31_2 Depth=1
	s_or_b64 exec, exec, s[6:7]
	v_cndmask_b32_e64 v8, 0, 1, vcc
	v_add_co_u32_sdwa v1, vcc, v1, v7 dst_sel:DWORD dst_unused:UNUSED_PAD src0_sel:DWORD src1_sel:BYTE_0
	v_addc_co_u32_e32 v2, vcc, 0, v2, vcc
	v_add_co_u32_sdwa v3, vcc, v3, v8 dst_sel:DWORD dst_unused:UNUSED_PAD src0_sel:DWORD src1_sel:BYTE_0
	s_add_i32 s8, s8, -1
	v_addc_co_u32_e32 v4, vcc, 0, v4, vcc
	s_cmp_lg_u32 s8, 0
	s_barrier
	s_cbranch_scc0 .LBB31_4
.LBB31_2:                               ; =>This Inner Loop Header: Depth=1
	s_waitcnt vmcnt(0)
	v_cmp_eq_u64_e32 vcc, v[1:2], v[3:4]
	v_mov_b32_e32 v7, 1
	ds_write_b64 v5, v[3:4]
	s_waitcnt lgkmcnt(0)
	s_barrier
	s_and_saveexec_b64 s[6:7], s[0:1]
	s_cbranch_execz .LBB31_1
; %bb.3:                                ;   in Loop: Header=BB31_2 Depth=1
	ds_read_b64 v[7:8], v6
	s_waitcnt lgkmcnt(0)
	v_cmp_eq_u64_e64 s[2:3], v[7:8], v[1:2]
	v_cndmask_b32_e64 v7, 0, 1, s[2:3]
	s_branch .LBB31_1
.LBB31_4:
	s_add_u32 s0, s10, s4
	s_addc_u32 s1, s11, s5
	v_lshlrev_b32_e32 v0, 3, v0
	global_store_dwordx2 v0, v[1:2], s[0:1]
	global_store_dwordx2 v0, v[3:4], s[0:1] offset:2048
	s_endpgm
	.section	.rodata,"a",@progbits
	.p2align	6, 0x0
	.amdhsa_kernel _Z6kernelI10flag_headsxLj256ELj2ELb0ELj100EEvPKT0_PS1_
		.amdhsa_group_segment_fixed_size 4096
		.amdhsa_private_segment_fixed_size 0
		.amdhsa_kernarg_size 16
		.amdhsa_user_sgpr_count 6
		.amdhsa_user_sgpr_private_segment_buffer 1
		.amdhsa_user_sgpr_dispatch_ptr 0
		.amdhsa_user_sgpr_queue_ptr 0
		.amdhsa_user_sgpr_kernarg_segment_ptr 1
		.amdhsa_user_sgpr_dispatch_id 0
		.amdhsa_user_sgpr_flat_scratch_init 0
		.amdhsa_user_sgpr_private_segment_size 0
		.amdhsa_uses_dynamic_stack 0
		.amdhsa_system_sgpr_private_segment_wavefront_offset 0
		.amdhsa_system_sgpr_workgroup_id_x 1
		.amdhsa_system_sgpr_workgroup_id_y 0
		.amdhsa_system_sgpr_workgroup_id_z 0
		.amdhsa_system_sgpr_workgroup_info 0
		.amdhsa_system_vgpr_workitem_id 0
		.amdhsa_next_free_vgpr 9
		.amdhsa_next_free_sgpr 12
		.amdhsa_reserve_vcc 1
		.amdhsa_reserve_flat_scratch 0
		.amdhsa_float_round_mode_32 0
		.amdhsa_float_round_mode_16_64 0
		.amdhsa_float_denorm_mode_32 3
		.amdhsa_float_denorm_mode_16_64 3
		.amdhsa_dx10_clamp 1
		.amdhsa_ieee_mode 1
		.amdhsa_fp16_overflow 0
		.amdhsa_exception_fp_ieee_invalid_op 0
		.amdhsa_exception_fp_denorm_src 0
		.amdhsa_exception_fp_ieee_div_zero 0
		.amdhsa_exception_fp_ieee_overflow 0
		.amdhsa_exception_fp_ieee_underflow 0
		.amdhsa_exception_fp_ieee_inexact 0
		.amdhsa_exception_int_div_zero 0
	.end_amdhsa_kernel
	.section	.text._Z6kernelI10flag_headsxLj256ELj2ELb0ELj100EEvPKT0_PS1_,"axG",@progbits,_Z6kernelI10flag_headsxLj256ELj2ELb0ELj100EEvPKT0_PS1_,comdat
.Lfunc_end31:
	.size	_Z6kernelI10flag_headsxLj256ELj2ELb0ELj100EEvPKT0_PS1_, .Lfunc_end31-_Z6kernelI10flag_headsxLj256ELj2ELb0ELj100EEvPKT0_PS1_
                                        ; -- End function
	.set _Z6kernelI10flag_headsxLj256ELj2ELb0ELj100EEvPKT0_PS1_.num_vgpr, 9
	.set _Z6kernelI10flag_headsxLj256ELj2ELb0ELj100EEvPKT0_PS1_.num_agpr, 0
	.set _Z6kernelI10flag_headsxLj256ELj2ELb0ELj100EEvPKT0_PS1_.numbered_sgpr, 12
	.set _Z6kernelI10flag_headsxLj256ELj2ELb0ELj100EEvPKT0_PS1_.num_named_barrier, 0
	.set _Z6kernelI10flag_headsxLj256ELj2ELb0ELj100EEvPKT0_PS1_.private_seg_size, 0
	.set _Z6kernelI10flag_headsxLj256ELj2ELb0ELj100EEvPKT0_PS1_.uses_vcc, 1
	.set _Z6kernelI10flag_headsxLj256ELj2ELb0ELj100EEvPKT0_PS1_.uses_flat_scratch, 0
	.set _Z6kernelI10flag_headsxLj256ELj2ELb0ELj100EEvPKT0_PS1_.has_dyn_sized_stack, 0
	.set _Z6kernelI10flag_headsxLj256ELj2ELb0ELj100EEvPKT0_PS1_.has_recursion, 0
	.set _Z6kernelI10flag_headsxLj256ELj2ELb0ELj100EEvPKT0_PS1_.has_indirect_call, 0
	.section	.AMDGPU.csdata,"",@progbits
; Kernel info:
; codeLenInByte = 224
; TotalNumSgprs: 16
; NumVgprs: 9
; ScratchSize: 0
; MemoryBound: 0
; FloatMode: 240
; IeeeMode: 1
; LDSByteSize: 4096 bytes/workgroup (compile time only)
; SGPRBlocks: 1
; VGPRBlocks: 2
; NumSGPRsForWavesPerEU: 16
; NumVGPRsForWavesPerEU: 9
; Occupancy: 10
; WaveLimiterHint : 1
; COMPUTE_PGM_RSRC2:SCRATCH_EN: 0
; COMPUTE_PGM_RSRC2:USER_SGPR: 6
; COMPUTE_PGM_RSRC2:TRAP_HANDLER: 0
; COMPUTE_PGM_RSRC2:TGID_X_EN: 1
; COMPUTE_PGM_RSRC2:TGID_Y_EN: 0
; COMPUTE_PGM_RSRC2:TGID_Z_EN: 0
; COMPUTE_PGM_RSRC2:TIDIG_COMP_CNT: 0
	.section	.text._Z6kernelI10flag_headsxLj256ELj3ELb0ELj100EEvPKT0_PS1_,"axG",@progbits,_Z6kernelI10flag_headsxLj256ELj3ELb0ELj100EEvPKT0_PS1_,comdat
	.protected	_Z6kernelI10flag_headsxLj256ELj3ELb0ELj100EEvPKT0_PS1_ ; -- Begin function _Z6kernelI10flag_headsxLj256ELj3ELb0ELj100EEvPKT0_PS1_
	.globl	_Z6kernelI10flag_headsxLj256ELj3ELb0ELj100EEvPKT0_PS1_
	.p2align	8
	.type	_Z6kernelI10flag_headsxLj256ELj3ELb0ELj100EEvPKT0_PS1_,@function
_Z6kernelI10flag_headsxLj256ELj3ELb0ELj100EEvPKT0_PS1_: ; @_Z6kernelI10flag_headsxLj256ELj3ELb0ELj100EEvPKT0_PS1_
; %bb.0:
	s_load_dwordx4 s[8:11], s[4:5], 0x0
	s_mul_i32 s0, s6, 0x300
	s_mov_b32 s1, 0
	s_lshl_b64 s[6:7], s[0:1], 3
	v_lshlrev_b32_e32 v7, 3, v0
	s_waitcnt lgkmcnt(0)
	s_add_u32 s0, s8, s6
	s_addc_u32 s1, s9, s7
	v_mov_b32_e32 v1, s1
	v_add_co_u32_e32 v2, vcc, s0, v7
	v_addc_co_u32_e32 v1, vcc, 0, v1, vcc
	v_add_co_u32_e32 v8, vcc, 0x1000, v2
	v_addc_co_u32_e32 v9, vcc, 0, v1, vcc
	global_load_dwordx2 v[5:6], v7, s[0:1]
	global_load_dwordx2 v[3:4], v7, s[0:1] offset:2048
	global_load_dwordx2 v[1:2], v[8:9], off
	v_cmp_ne_u32_e64 s[0:1], 0, v0
	v_add_u32_e32 v8, -8, v7
	s_movk_i32 s12, 0x64
	s_branch .LBB32_2
.LBB32_1:                               ;   in Loop: Header=BB32_2 Depth=1
	s_or_b64 exec, exec, s[8:9]
	v_cndmask_b32_e64 v10, 0, 1, vcc
	v_add_co_u32_sdwa v5, vcc, v5, v9 dst_sel:DWORD dst_unused:UNUSED_PAD src0_sel:DWORD src1_sel:BYTE_0
	v_cndmask_b32_e64 v11, 0, 1, s[2:3]
	v_addc_co_u32_e32 v6, vcc, 0, v6, vcc
	v_add_co_u32_sdwa v3, vcc, v3, v11 dst_sel:DWORD dst_unused:UNUSED_PAD src0_sel:DWORD src1_sel:BYTE_0
	v_addc_co_u32_e32 v4, vcc, 0, v4, vcc
	v_add_co_u32_sdwa v1, vcc, v1, v10 dst_sel:DWORD dst_unused:UNUSED_PAD src0_sel:DWORD src1_sel:BYTE_0
	s_add_i32 s12, s12, -1
	v_addc_co_u32_e32 v2, vcc, 0, v2, vcc
	s_cmp_lg_u32 s12, 0
	s_barrier
	s_cbranch_scc0 .LBB32_4
.LBB32_2:                               ; =>This Inner Loop Header: Depth=1
	s_waitcnt vmcnt(0)
	v_cmp_eq_u64_e32 vcc, v[3:4], v[1:2]
	v_cmp_eq_u64_e64 s[2:3], v[5:6], v[3:4]
	v_mov_b32_e32 v9, 1
	ds_write_b64 v7, v[1:2]
	s_waitcnt lgkmcnt(0)
	s_barrier
	s_and_saveexec_b64 s[8:9], s[0:1]
	s_cbranch_execz .LBB32_1
; %bb.3:                                ;   in Loop: Header=BB32_2 Depth=1
	ds_read_b64 v[9:10], v8
	s_waitcnt lgkmcnt(0)
	v_cmp_eq_u64_e64 s[4:5], v[9:10], v[5:6]
	v_cndmask_b32_e64 v9, 0, 1, s[4:5]
	s_branch .LBB32_1
.LBB32_4:
	s_add_u32 s0, s10, s6
	s_addc_u32 s1, s11, s7
	v_lshlrev_b32_e32 v0, 3, v0
	v_mov_b32_e32 v7, s1
	v_add_co_u32_e32 v8, vcc, s0, v0
	v_addc_co_u32_e32 v7, vcc, 0, v7, vcc
	global_store_dwordx2 v0, v[5:6], s[0:1]
	global_store_dwordx2 v0, v[3:4], s[0:1] offset:2048
	v_add_co_u32_e32 v3, vcc, 0x1000, v8
	v_addc_co_u32_e32 v4, vcc, 0, v7, vcc
	global_store_dwordx2 v[3:4], v[1:2], off
	s_endpgm
	.section	.rodata,"a",@progbits
	.p2align	6, 0x0
	.amdhsa_kernel _Z6kernelI10flag_headsxLj256ELj3ELb0ELj100EEvPKT0_PS1_
		.amdhsa_group_segment_fixed_size 4096
		.amdhsa_private_segment_fixed_size 0
		.amdhsa_kernarg_size 16
		.amdhsa_user_sgpr_count 6
		.amdhsa_user_sgpr_private_segment_buffer 1
		.amdhsa_user_sgpr_dispatch_ptr 0
		.amdhsa_user_sgpr_queue_ptr 0
		.amdhsa_user_sgpr_kernarg_segment_ptr 1
		.amdhsa_user_sgpr_dispatch_id 0
		.amdhsa_user_sgpr_flat_scratch_init 0
		.amdhsa_user_sgpr_private_segment_size 0
		.amdhsa_uses_dynamic_stack 0
		.amdhsa_system_sgpr_private_segment_wavefront_offset 0
		.amdhsa_system_sgpr_workgroup_id_x 1
		.amdhsa_system_sgpr_workgroup_id_y 0
		.amdhsa_system_sgpr_workgroup_id_z 0
		.amdhsa_system_sgpr_workgroup_info 0
		.amdhsa_system_vgpr_workitem_id 0
		.amdhsa_next_free_vgpr 12
		.amdhsa_next_free_sgpr 13
		.amdhsa_reserve_vcc 1
		.amdhsa_reserve_flat_scratch 0
		.amdhsa_float_round_mode_32 0
		.amdhsa_float_round_mode_16_64 0
		.amdhsa_float_denorm_mode_32 3
		.amdhsa_float_denorm_mode_16_64 3
		.amdhsa_dx10_clamp 1
		.amdhsa_ieee_mode 1
		.amdhsa_fp16_overflow 0
		.amdhsa_exception_fp_ieee_invalid_op 0
		.amdhsa_exception_fp_denorm_src 0
		.amdhsa_exception_fp_ieee_div_zero 0
		.amdhsa_exception_fp_ieee_overflow 0
		.amdhsa_exception_fp_ieee_underflow 0
		.amdhsa_exception_fp_ieee_inexact 0
		.amdhsa_exception_int_div_zero 0
	.end_amdhsa_kernel
	.section	.text._Z6kernelI10flag_headsxLj256ELj3ELb0ELj100EEvPKT0_PS1_,"axG",@progbits,_Z6kernelI10flag_headsxLj256ELj3ELb0ELj100EEvPKT0_PS1_,comdat
.Lfunc_end32:
	.size	_Z6kernelI10flag_headsxLj256ELj3ELb0ELj100EEvPKT0_PS1_, .Lfunc_end32-_Z6kernelI10flag_headsxLj256ELj3ELb0ELj100EEvPKT0_PS1_
                                        ; -- End function
	.set _Z6kernelI10flag_headsxLj256ELj3ELb0ELj100EEvPKT0_PS1_.num_vgpr, 12
	.set _Z6kernelI10flag_headsxLj256ELj3ELb0ELj100EEvPKT0_PS1_.num_agpr, 0
	.set _Z6kernelI10flag_headsxLj256ELj3ELb0ELj100EEvPKT0_PS1_.numbered_sgpr, 13
	.set _Z6kernelI10flag_headsxLj256ELj3ELb0ELj100EEvPKT0_PS1_.num_named_barrier, 0
	.set _Z6kernelI10flag_headsxLj256ELj3ELb0ELj100EEvPKT0_PS1_.private_seg_size, 0
	.set _Z6kernelI10flag_headsxLj256ELj3ELb0ELj100EEvPKT0_PS1_.uses_vcc, 1
	.set _Z6kernelI10flag_headsxLj256ELj3ELb0ELj100EEvPKT0_PS1_.uses_flat_scratch, 0
	.set _Z6kernelI10flag_headsxLj256ELj3ELb0ELj100EEvPKT0_PS1_.has_dyn_sized_stack, 0
	.set _Z6kernelI10flag_headsxLj256ELj3ELb0ELj100EEvPKT0_PS1_.has_recursion, 0
	.set _Z6kernelI10flag_headsxLj256ELj3ELb0ELj100EEvPKT0_PS1_.has_indirect_call, 0
	.section	.AMDGPU.csdata,"",@progbits
; Kernel info:
; codeLenInByte = 320
; TotalNumSgprs: 17
; NumVgprs: 12
; ScratchSize: 0
; MemoryBound: 0
; FloatMode: 240
; IeeeMode: 1
; LDSByteSize: 4096 bytes/workgroup (compile time only)
; SGPRBlocks: 2
; VGPRBlocks: 2
; NumSGPRsForWavesPerEU: 17
; NumVGPRsForWavesPerEU: 12
; Occupancy: 10
; WaveLimiterHint : 1
; COMPUTE_PGM_RSRC2:SCRATCH_EN: 0
; COMPUTE_PGM_RSRC2:USER_SGPR: 6
; COMPUTE_PGM_RSRC2:TRAP_HANDLER: 0
; COMPUTE_PGM_RSRC2:TGID_X_EN: 1
; COMPUTE_PGM_RSRC2:TGID_Y_EN: 0
; COMPUTE_PGM_RSRC2:TGID_Z_EN: 0
; COMPUTE_PGM_RSRC2:TIDIG_COMP_CNT: 0
	.section	.text._Z6kernelI10flag_headsxLj256ELj4ELb0ELj100EEvPKT0_PS1_,"axG",@progbits,_Z6kernelI10flag_headsxLj256ELj4ELb0ELj100EEvPKT0_PS1_,comdat
	.protected	_Z6kernelI10flag_headsxLj256ELj4ELb0ELj100EEvPKT0_PS1_ ; -- Begin function _Z6kernelI10flag_headsxLj256ELj4ELb0ELj100EEvPKT0_PS1_
	.globl	_Z6kernelI10flag_headsxLj256ELj4ELb0ELj100EEvPKT0_PS1_
	.p2align	8
	.type	_Z6kernelI10flag_headsxLj256ELj4ELb0ELj100EEvPKT0_PS1_,@function
_Z6kernelI10flag_headsxLj256ELj4ELb0ELj100EEvPKT0_PS1_: ; @_Z6kernelI10flag_headsxLj256ELj4ELb0ELj100EEvPKT0_PS1_
; %bb.0:
	s_load_dwordx4 s[8:11], s[4:5], 0x0
	s_lshl_b32 s12, s6, 10
	s_mov_b32 s13, 0
	s_lshl_b64 s[14:15], s[12:13], 3
	v_lshlrev_b32_e32 v11, 3, v0
	s_waitcnt lgkmcnt(0)
	s_add_u32 s0, s8, s14
	s_addc_u32 s1, s9, s15
	v_mov_b32_e32 v1, s1
	v_add_co_u32_e32 v2, vcc, s0, v11
	v_addc_co_u32_e32 v1, vcc, 0, v1, vcc
	v_add_co_u32_e32 v9, vcc, 0x1000, v2
	v_addc_co_u32_e32 v10, vcc, 0, v1, vcc
	global_load_dwordx2 v[5:6], v11, s[0:1]
	global_load_dwordx2 v[7:8], v11, s[0:1] offset:2048
	global_load_dwordx2 v[1:2], v[9:10], off
	global_load_dwordx2 v[3:4], v[9:10], off offset:2048
	v_cmp_ne_u32_e32 vcc, 0, v0
	v_add_u32_e32 v12, -8, v11
	s_movk_i32 s8, 0x64
	s_branch .LBB33_2
.LBB33_1:                               ;   in Loop: Header=BB33_2 Depth=1
	s_or_b64 exec, exec, s[2:3]
	v_cmp_eq_u64_e64 s[4:5], v[5:6], v[7:8]
	v_cmp_eq_u64_e64 s[2:3], v[7:8], v[1:2]
	;; [unrolled: 1-line block ×3, first 2 shown]
	v_add_co_u32_e64 v5, s[6:7], v9, v5
	v_cndmask_b32_e64 v9, 0, 1, s[4:5]
	v_add_co_u32_e64 v7, s[4:5], v7, v9
	v_cndmask_b32_e64 v9, 0, 1, s[2:3]
	;; [unrolled: 2-line block ×3, first 2 shown]
	v_add_co_u32_e64 v3, s[0:1], v3, v9
	s_add_i32 s8, s8, -1
	v_addc_co_u32_e64 v6, s[6:7], v10, v6, s[6:7]
	v_addc_co_u32_e64 v8, s[4:5], 0, v8, s[4:5]
	;; [unrolled: 1-line block ×4, first 2 shown]
	s_cmp_lg_u32 s8, 0
	s_barrier
	s_cbranch_scc0 .LBB33_4
.LBB33_2:                               ; =>This Inner Loop Header: Depth=1
	v_mov_b32_e32 v9, 1
	v_mov_b32_e32 v10, 0
	s_waitcnt vmcnt(0)
	ds_write_b64 v11, v[3:4]
	s_waitcnt lgkmcnt(0)
	s_barrier
	s_and_saveexec_b64 s[2:3], vcc
	s_cbranch_execz .LBB33_1
; %bb.3:                                ;   in Loop: Header=BB33_2 Depth=1
	ds_read_b64 v[9:10], v12
	s_waitcnt lgkmcnt(0)
	v_cmp_eq_u64_e64 s[0:1], v[9:10], v[5:6]
	v_mov_b32_e32 v10, s13
	v_cndmask_b32_e64 v9, 0, 1, s[0:1]
	s_branch .LBB33_1
.LBB33_4:
	s_add_u32 s0, s10, s14
	s_addc_u32 s1, s11, s15
	v_lshlrev_b32_e32 v0, 3, v0
	v_mov_b32_e32 v9, s1
	v_add_co_u32_e32 v10, vcc, s0, v0
	v_addc_co_u32_e32 v9, vcc, 0, v9, vcc
	global_store_dwordx2 v0, v[5:6], s[0:1]
	global_store_dwordx2 v0, v[7:8], s[0:1] offset:2048
	v_add_co_u32_e32 v5, vcc, 0x1000, v10
	v_addc_co_u32_e32 v6, vcc, 0, v9, vcc
	global_store_dwordx2 v[5:6], v[1:2], off
	global_store_dwordx2 v[5:6], v[3:4], off offset:2048
	s_endpgm
	.section	.rodata,"a",@progbits
	.p2align	6, 0x0
	.amdhsa_kernel _Z6kernelI10flag_headsxLj256ELj4ELb0ELj100EEvPKT0_PS1_
		.amdhsa_group_segment_fixed_size 4096
		.amdhsa_private_segment_fixed_size 0
		.amdhsa_kernarg_size 16
		.amdhsa_user_sgpr_count 6
		.amdhsa_user_sgpr_private_segment_buffer 1
		.amdhsa_user_sgpr_dispatch_ptr 0
		.amdhsa_user_sgpr_queue_ptr 0
		.amdhsa_user_sgpr_kernarg_segment_ptr 1
		.amdhsa_user_sgpr_dispatch_id 0
		.amdhsa_user_sgpr_flat_scratch_init 0
		.amdhsa_user_sgpr_private_segment_size 0
		.amdhsa_uses_dynamic_stack 0
		.amdhsa_system_sgpr_private_segment_wavefront_offset 0
		.amdhsa_system_sgpr_workgroup_id_x 1
		.amdhsa_system_sgpr_workgroup_id_y 0
		.amdhsa_system_sgpr_workgroup_id_z 0
		.amdhsa_system_sgpr_workgroup_info 0
		.amdhsa_system_vgpr_workitem_id 0
		.amdhsa_next_free_vgpr 13
		.amdhsa_next_free_sgpr 16
		.amdhsa_reserve_vcc 1
		.amdhsa_reserve_flat_scratch 0
		.amdhsa_float_round_mode_32 0
		.amdhsa_float_round_mode_16_64 0
		.amdhsa_float_denorm_mode_32 3
		.amdhsa_float_denorm_mode_16_64 3
		.amdhsa_dx10_clamp 1
		.amdhsa_ieee_mode 1
		.amdhsa_fp16_overflow 0
		.amdhsa_exception_fp_ieee_invalid_op 0
		.amdhsa_exception_fp_denorm_src 0
		.amdhsa_exception_fp_ieee_div_zero 0
		.amdhsa_exception_fp_ieee_overflow 0
		.amdhsa_exception_fp_ieee_underflow 0
		.amdhsa_exception_fp_ieee_inexact 0
		.amdhsa_exception_int_div_zero 0
	.end_amdhsa_kernel
	.section	.text._Z6kernelI10flag_headsxLj256ELj4ELb0ELj100EEvPKT0_PS1_,"axG",@progbits,_Z6kernelI10flag_headsxLj256ELj4ELb0ELj100EEvPKT0_PS1_,comdat
.Lfunc_end33:
	.size	_Z6kernelI10flag_headsxLj256ELj4ELb0ELj100EEvPKT0_PS1_, .Lfunc_end33-_Z6kernelI10flag_headsxLj256ELj4ELb0ELj100EEvPKT0_PS1_
                                        ; -- End function
	.set _Z6kernelI10flag_headsxLj256ELj4ELb0ELj100EEvPKT0_PS1_.num_vgpr, 13
	.set _Z6kernelI10flag_headsxLj256ELj4ELb0ELj100EEvPKT0_PS1_.num_agpr, 0
	.set _Z6kernelI10flag_headsxLj256ELj4ELb0ELj100EEvPKT0_PS1_.numbered_sgpr, 16
	.set _Z6kernelI10flag_headsxLj256ELj4ELb0ELj100EEvPKT0_PS1_.num_named_barrier, 0
	.set _Z6kernelI10flag_headsxLj256ELj4ELb0ELj100EEvPKT0_PS1_.private_seg_size, 0
	.set _Z6kernelI10flag_headsxLj256ELj4ELb0ELj100EEvPKT0_PS1_.uses_vcc, 1
	.set _Z6kernelI10flag_headsxLj256ELj4ELb0ELj100EEvPKT0_PS1_.uses_flat_scratch, 0
	.set _Z6kernelI10flag_headsxLj256ELj4ELb0ELj100EEvPKT0_PS1_.has_dyn_sized_stack, 0
	.set _Z6kernelI10flag_headsxLj256ELj4ELb0ELj100EEvPKT0_PS1_.has_recursion, 0
	.set _Z6kernelI10flag_headsxLj256ELj4ELb0ELj100EEvPKT0_PS1_.has_indirect_call, 0
	.section	.AMDGPU.csdata,"",@progbits
; Kernel info:
; codeLenInByte = 384
; TotalNumSgprs: 20
; NumVgprs: 13
; ScratchSize: 0
; MemoryBound: 0
; FloatMode: 240
; IeeeMode: 1
; LDSByteSize: 4096 bytes/workgroup (compile time only)
; SGPRBlocks: 2
; VGPRBlocks: 3
; NumSGPRsForWavesPerEU: 20
; NumVGPRsForWavesPerEU: 13
; Occupancy: 10
; WaveLimiterHint : 1
; COMPUTE_PGM_RSRC2:SCRATCH_EN: 0
; COMPUTE_PGM_RSRC2:USER_SGPR: 6
; COMPUTE_PGM_RSRC2:TRAP_HANDLER: 0
; COMPUTE_PGM_RSRC2:TGID_X_EN: 1
; COMPUTE_PGM_RSRC2:TGID_Y_EN: 0
; COMPUTE_PGM_RSRC2:TGID_Z_EN: 0
; COMPUTE_PGM_RSRC2:TIDIG_COMP_CNT: 0
	.section	.text._Z6kernelI10flag_headsxLj256ELj8ELb0ELj100EEvPKT0_PS1_,"axG",@progbits,_Z6kernelI10flag_headsxLj256ELj8ELb0ELj100EEvPKT0_PS1_,comdat
	.protected	_Z6kernelI10flag_headsxLj256ELj8ELb0ELj100EEvPKT0_PS1_ ; -- Begin function _Z6kernelI10flag_headsxLj256ELj8ELb0ELj100EEvPKT0_PS1_
	.globl	_Z6kernelI10flag_headsxLj256ELj8ELb0ELj100EEvPKT0_PS1_
	.p2align	8
	.type	_Z6kernelI10flag_headsxLj256ELj8ELb0ELj100EEvPKT0_PS1_,@function
_Z6kernelI10flag_headsxLj256ELj8ELb0ELj100EEvPKT0_PS1_: ; @_Z6kernelI10flag_headsxLj256ELj8ELb0ELj100EEvPKT0_PS1_
; %bb.0:
	s_load_dwordx4 s[16:19], s[4:5], 0x0
	s_lshl_b32 s20, s6, 11
	s_mov_b32 s21, 0
	s_lshl_b64 s[22:23], s[20:21], 3
	v_lshlrev_b32_e32 v19, 3, v0
	s_waitcnt lgkmcnt(0)
	s_add_u32 s0, s16, s22
	s_addc_u32 s1, s17, s23
	v_mov_b32_e32 v1, s1
	v_add_co_u32_e32 v2, vcc, s0, v19
	v_addc_co_u32_e32 v1, vcc, 0, v1, vcc
	s_movk_i32 s2, 0x1000
	v_add_co_u32_e32 v17, vcc, s2, v2
	v_addc_co_u32_e32 v18, vcc, 0, v1, vcc
	s_movk_i32 s2, 0x2000
	v_add_co_u32_e32 v20, vcc, s2, v2
	v_addc_co_u32_e32 v21, vcc, 0, v1, vcc
	v_add_co_u32_e32 v22, vcc, 0x3000, v2
	v_addc_co_u32_e32 v23, vcc, 0, v1, vcc
	global_load_dwordx2 v[13:14], v19, s[0:1]
	global_load_dwordx2 v[15:16], v19, s[0:1] offset:2048
	global_load_dwordx2 v[9:10], v[17:18], off offset:2048
	global_load_dwordx2 v[1:2], v[22:23], off
	global_load_dwordx2 v[11:12], v[20:21], off offset:-4096
	global_load_dwordx2 v[5:6], v[20:21], off
	global_load_dwordx2 v[7:8], v[20:21], off offset:2048
	global_load_dwordx2 v[3:4], v[22:23], off offset:2048
	v_cmp_ne_u32_e32 vcc, 0, v0
	v_add_u32_e32 v20, -8, v19
	s_movk_i32 s16, 0x64
	s_branch .LBB34_2
.LBB34_1:                               ;   in Loop: Header=BB34_2 Depth=1
	s_or_b64 exec, exec, s[2:3]
	v_cmp_eq_u64_e64 s[12:13], v[13:14], v[15:16]
	v_cmp_eq_u64_e64 s[10:11], v[15:16], v[11:12]
	;; [unrolled: 1-line block ×3, first 2 shown]
	v_add_co_u32_e64 v13, s[14:15], v17, v13
	v_cndmask_b32_e64 v17, 0, 1, s[12:13]
	v_cmp_eq_u64_e64 s[6:7], v[9:10], v[5:6]
	v_add_co_u32_e64 v15, s[12:13], v15, v17
	v_cndmask_b32_e64 v17, 0, 1, s[10:11]
	v_cmp_eq_u64_e64 s[4:5], v[5:6], v[7:8]
	;; [unrolled: 3-line block ×4, first 2 shown]
	v_add_co_u32_e64 v5, s[6:7], v5, v17
	v_cndmask_b32_e64 v17, 0, 1, s[4:5]
	v_add_co_u32_e64 v7, s[4:5], v7, v17
	v_cndmask_b32_e64 v17, 0, 1, s[2:3]
	v_add_co_u32_e64 v1, s[2:3], v1, v17
	v_cndmask_b32_e64 v17, 0, 1, s[0:1]
	v_add_co_u32_e64 v3, s[0:1], v3, v17
	s_add_i32 s16, s16, -1
	v_addc_co_u32_e64 v14, s[14:15], v18, v14, s[14:15]
	v_addc_co_u32_e64 v16, s[12:13], 0, v16, s[12:13]
	;; [unrolled: 1-line block ×8, first 2 shown]
	s_cmp_lg_u32 s16, 0
	s_barrier
	s_cbranch_scc0 .LBB34_4
.LBB34_2:                               ; =>This Inner Loop Header: Depth=1
	v_mov_b32_e32 v17, 1
	v_mov_b32_e32 v18, 0
	s_waitcnt vmcnt(0)
	ds_write_b64 v19, v[3:4]
	s_waitcnt lgkmcnt(0)
	s_barrier
	s_and_saveexec_b64 s[2:3], vcc
	s_cbranch_execz .LBB34_1
; %bb.3:                                ;   in Loop: Header=BB34_2 Depth=1
	ds_read_b64 v[17:18], v20
	s_waitcnt lgkmcnt(0)
	v_cmp_eq_u64_e64 s[0:1], v[17:18], v[13:14]
	v_mov_b32_e32 v18, s21
	v_cndmask_b32_e64 v17, 0, 1, s[0:1]
	s_branch .LBB34_1
.LBB34_4:
	s_add_u32 s0, s18, s22
	s_addc_u32 s1, s19, s23
	v_lshlrev_b32_e32 v0, 3, v0
	v_mov_b32_e32 v17, s1
	v_add_co_u32_e32 v18, vcc, s0, v0
	v_addc_co_u32_e32 v17, vcc, 0, v17, vcc
	global_store_dwordx2 v0, v[13:14], s[0:1]
	global_store_dwordx2 v0, v[15:16], s[0:1] offset:2048
	v_add_co_u32_e32 v13, vcc, 0x1000, v18
	v_addc_co_u32_e32 v14, vcc, 0, v17, vcc
	global_store_dwordx2 v[13:14], v[11:12], off
	global_store_dwordx2 v[13:14], v[9:10], off offset:2048
	v_add_co_u32_e32 v9, vcc, 0x2000, v18
	v_addc_co_u32_e32 v10, vcc, 0, v17, vcc
	global_store_dwordx2 v[9:10], v[5:6], off
	global_store_dwordx2 v[9:10], v[7:8], off offset:2048
	;; [unrolled: 4-line block ×3, first 2 shown]
	s_endpgm
	.section	.rodata,"a",@progbits
	.p2align	6, 0x0
	.amdhsa_kernel _Z6kernelI10flag_headsxLj256ELj8ELb0ELj100EEvPKT0_PS1_
		.amdhsa_group_segment_fixed_size 4096
		.amdhsa_private_segment_fixed_size 0
		.amdhsa_kernarg_size 16
		.amdhsa_user_sgpr_count 6
		.amdhsa_user_sgpr_private_segment_buffer 1
		.amdhsa_user_sgpr_dispatch_ptr 0
		.amdhsa_user_sgpr_queue_ptr 0
		.amdhsa_user_sgpr_kernarg_segment_ptr 1
		.amdhsa_user_sgpr_dispatch_id 0
		.amdhsa_user_sgpr_flat_scratch_init 0
		.amdhsa_user_sgpr_private_segment_size 0
		.amdhsa_uses_dynamic_stack 0
		.amdhsa_system_sgpr_private_segment_wavefront_offset 0
		.amdhsa_system_sgpr_workgroup_id_x 1
		.amdhsa_system_sgpr_workgroup_id_y 0
		.amdhsa_system_sgpr_workgroup_id_z 0
		.amdhsa_system_sgpr_workgroup_info 0
		.amdhsa_system_vgpr_workitem_id 0
		.amdhsa_next_free_vgpr 24
		.amdhsa_next_free_sgpr 24
		.amdhsa_reserve_vcc 1
		.amdhsa_reserve_flat_scratch 0
		.amdhsa_float_round_mode_32 0
		.amdhsa_float_round_mode_16_64 0
		.amdhsa_float_denorm_mode_32 3
		.amdhsa_float_denorm_mode_16_64 3
		.amdhsa_dx10_clamp 1
		.amdhsa_ieee_mode 1
		.amdhsa_fp16_overflow 0
		.amdhsa_exception_fp_ieee_invalid_op 0
		.amdhsa_exception_fp_denorm_src 0
		.amdhsa_exception_fp_ieee_div_zero 0
		.amdhsa_exception_fp_ieee_overflow 0
		.amdhsa_exception_fp_ieee_underflow 0
		.amdhsa_exception_fp_ieee_inexact 0
		.amdhsa_exception_int_div_zero 0
	.end_amdhsa_kernel
	.section	.text._Z6kernelI10flag_headsxLj256ELj8ELb0ELj100EEvPKT0_PS1_,"axG",@progbits,_Z6kernelI10flag_headsxLj256ELj8ELb0ELj100EEvPKT0_PS1_,comdat
.Lfunc_end34:
	.size	_Z6kernelI10flag_headsxLj256ELj8ELb0ELj100EEvPKT0_PS1_, .Lfunc_end34-_Z6kernelI10flag_headsxLj256ELj8ELb0ELj100EEvPKT0_PS1_
                                        ; -- End function
	.set _Z6kernelI10flag_headsxLj256ELj8ELb0ELj100EEvPKT0_PS1_.num_vgpr, 24
	.set _Z6kernelI10flag_headsxLj256ELj8ELb0ELj100EEvPKT0_PS1_.num_agpr, 0
	.set _Z6kernelI10flag_headsxLj256ELj8ELb0ELj100EEvPKT0_PS1_.numbered_sgpr, 24
	.set _Z6kernelI10flag_headsxLj256ELj8ELb0ELj100EEvPKT0_PS1_.num_named_barrier, 0
	.set _Z6kernelI10flag_headsxLj256ELj8ELb0ELj100EEvPKT0_PS1_.private_seg_size, 0
	.set _Z6kernelI10flag_headsxLj256ELj8ELb0ELj100EEvPKT0_PS1_.uses_vcc, 1
	.set _Z6kernelI10flag_headsxLj256ELj8ELb0ELj100EEvPKT0_PS1_.uses_flat_scratch, 0
	.set _Z6kernelI10flag_headsxLj256ELj8ELb0ELj100EEvPKT0_PS1_.has_dyn_sized_stack, 0
	.set _Z6kernelI10flag_headsxLj256ELj8ELb0ELj100EEvPKT0_PS1_.has_recursion, 0
	.set _Z6kernelI10flag_headsxLj256ELj8ELb0ELj100EEvPKT0_PS1_.has_indirect_call, 0
	.section	.AMDGPU.csdata,"",@progbits
; Kernel info:
; codeLenInByte = 624
; TotalNumSgprs: 28
; NumVgprs: 24
; ScratchSize: 0
; MemoryBound: 0
; FloatMode: 240
; IeeeMode: 1
; LDSByteSize: 4096 bytes/workgroup (compile time only)
; SGPRBlocks: 3
; VGPRBlocks: 5
; NumSGPRsForWavesPerEU: 28
; NumVGPRsForWavesPerEU: 24
; Occupancy: 10
; WaveLimiterHint : 1
; COMPUTE_PGM_RSRC2:SCRATCH_EN: 0
; COMPUTE_PGM_RSRC2:USER_SGPR: 6
; COMPUTE_PGM_RSRC2:TRAP_HANDLER: 0
; COMPUTE_PGM_RSRC2:TGID_X_EN: 1
; COMPUTE_PGM_RSRC2:TGID_Y_EN: 0
; COMPUTE_PGM_RSRC2:TGID_Z_EN: 0
; COMPUTE_PGM_RSRC2:TIDIG_COMP_CNT: 0
	.section	.text._Z6kernelI10flag_headsxLj256ELj1ELb1ELj100EEvPKT0_PS1_,"axG",@progbits,_Z6kernelI10flag_headsxLj256ELj1ELb1ELj100EEvPKT0_PS1_,comdat
	.protected	_Z6kernelI10flag_headsxLj256ELj1ELb1ELj100EEvPKT0_PS1_ ; -- Begin function _Z6kernelI10flag_headsxLj256ELj1ELb1ELj100EEvPKT0_PS1_
	.globl	_Z6kernelI10flag_headsxLj256ELj1ELb1ELj100EEvPKT0_PS1_
	.p2align	8
	.type	_Z6kernelI10flag_headsxLj256ELj1ELb1ELj100EEvPKT0_PS1_,@function
_Z6kernelI10flag_headsxLj256ELj1ELb1ELj100EEvPKT0_PS1_: ; @_Z6kernelI10flag_headsxLj256ELj1ELb1ELj100EEvPKT0_PS1_
; %bb.0:
	s_load_dwordx4 s[0:3], s[4:5], 0x0
	s_lshl_b32 s4, s6, 8
	s_mov_b32 s5, 0
	s_lshl_b64 s[4:5], s[4:5], 3
	v_lshlrev_b32_e32 v5, 3, v0
	s_waitcnt lgkmcnt(0)
	s_add_u32 s0, s0, s4
	s_addc_u32 s1, s1, s5
	global_load_dwordx2 v[1:2], v5, s[0:1]
	v_cmp_ne_u32_e32 vcc, 0, v0
	v_add_u32_e32 v6, -8, v5
	s_movk_i32 s6, 0x64
	s_branch .LBB35_2
.LBB35_1:                               ;   in Loop: Header=BB35_2 Depth=1
	s_or_b64 exec, exec, s[0:1]
	s_waitcnt lgkmcnt(0)
	v_cmp_eq_u64_e64 s[0:1], v[3:4], v[1:2]
	s_add_i32 s6, s6, -1
	v_cndmask_b32_e64 v3, 0, 1, s[0:1]
	v_add_co_u32_e64 v1, s[0:1], v1, v3
	v_addc_co_u32_e64 v2, s[0:1], 0, v2, s[0:1]
	s_cmp_lg_u32 s6, 0
	s_barrier
	s_cbranch_scc0 .LBB35_4
.LBB35_2:                               ; =>This Inner Loop Header: Depth=1
	v_mov_b32_e32 v3, 0x7b
	v_mov_b32_e32 v4, 0
	s_waitcnt vmcnt(0)
	ds_write_b64 v5, v[1:2]
	s_waitcnt lgkmcnt(0)
	s_barrier
	s_and_saveexec_b64 s[0:1], vcc
	s_cbranch_execz .LBB35_1
; %bb.3:                                ;   in Loop: Header=BB35_2 Depth=1
	ds_read_b64 v[3:4], v6
	s_branch .LBB35_1
.LBB35_4:
	s_add_u32 s0, s2, s4
	s_addc_u32 s1, s3, s5
	v_lshlrev_b32_e32 v0, 3, v0
	global_store_dwordx2 v0, v[1:2], s[0:1]
	s_endpgm
	.section	.rodata,"a",@progbits
	.p2align	6, 0x0
	.amdhsa_kernel _Z6kernelI10flag_headsxLj256ELj1ELb1ELj100EEvPKT0_PS1_
		.amdhsa_group_segment_fixed_size 4096
		.amdhsa_private_segment_fixed_size 0
		.amdhsa_kernarg_size 16
		.amdhsa_user_sgpr_count 6
		.amdhsa_user_sgpr_private_segment_buffer 1
		.amdhsa_user_sgpr_dispatch_ptr 0
		.amdhsa_user_sgpr_queue_ptr 0
		.amdhsa_user_sgpr_kernarg_segment_ptr 1
		.amdhsa_user_sgpr_dispatch_id 0
		.amdhsa_user_sgpr_flat_scratch_init 0
		.amdhsa_user_sgpr_private_segment_size 0
		.amdhsa_uses_dynamic_stack 0
		.amdhsa_system_sgpr_private_segment_wavefront_offset 0
		.amdhsa_system_sgpr_workgroup_id_x 1
		.amdhsa_system_sgpr_workgroup_id_y 0
		.amdhsa_system_sgpr_workgroup_id_z 0
		.amdhsa_system_sgpr_workgroup_info 0
		.amdhsa_system_vgpr_workitem_id 0
		.amdhsa_next_free_vgpr 7
		.amdhsa_next_free_sgpr 7
		.amdhsa_reserve_vcc 1
		.amdhsa_reserve_flat_scratch 0
		.amdhsa_float_round_mode_32 0
		.amdhsa_float_round_mode_16_64 0
		.amdhsa_float_denorm_mode_32 3
		.amdhsa_float_denorm_mode_16_64 3
		.amdhsa_dx10_clamp 1
		.amdhsa_ieee_mode 1
		.amdhsa_fp16_overflow 0
		.amdhsa_exception_fp_ieee_invalid_op 0
		.amdhsa_exception_fp_denorm_src 0
		.amdhsa_exception_fp_ieee_div_zero 0
		.amdhsa_exception_fp_ieee_overflow 0
		.amdhsa_exception_fp_ieee_underflow 0
		.amdhsa_exception_fp_ieee_inexact 0
		.amdhsa_exception_int_div_zero 0
	.end_amdhsa_kernel
	.section	.text._Z6kernelI10flag_headsxLj256ELj1ELb1ELj100EEvPKT0_PS1_,"axG",@progbits,_Z6kernelI10flag_headsxLj256ELj1ELb1ELj100EEvPKT0_PS1_,comdat
.Lfunc_end35:
	.size	_Z6kernelI10flag_headsxLj256ELj1ELb1ELj100EEvPKT0_PS1_, .Lfunc_end35-_Z6kernelI10flag_headsxLj256ELj1ELb1ELj100EEvPKT0_PS1_
                                        ; -- End function
	.set _Z6kernelI10flag_headsxLj256ELj1ELb1ELj100EEvPKT0_PS1_.num_vgpr, 7
	.set _Z6kernelI10flag_headsxLj256ELj1ELb1ELj100EEvPKT0_PS1_.num_agpr, 0
	.set _Z6kernelI10flag_headsxLj256ELj1ELb1ELj100EEvPKT0_PS1_.numbered_sgpr, 7
	.set _Z6kernelI10flag_headsxLj256ELj1ELb1ELj100EEvPKT0_PS1_.num_named_barrier, 0
	.set _Z6kernelI10flag_headsxLj256ELj1ELb1ELj100EEvPKT0_PS1_.private_seg_size, 0
	.set _Z6kernelI10flag_headsxLj256ELj1ELb1ELj100EEvPKT0_PS1_.uses_vcc, 1
	.set _Z6kernelI10flag_headsxLj256ELj1ELb1ELj100EEvPKT0_PS1_.uses_flat_scratch, 0
	.set _Z6kernelI10flag_headsxLj256ELj1ELb1ELj100EEvPKT0_PS1_.has_dyn_sized_stack, 0
	.set _Z6kernelI10flag_headsxLj256ELj1ELb1ELj100EEvPKT0_PS1_.has_recursion, 0
	.set _Z6kernelI10flag_headsxLj256ELj1ELb1ELj100EEvPKT0_PS1_.has_indirect_call, 0
	.section	.AMDGPU.csdata,"",@progbits
; Kernel info:
; codeLenInByte = 192
; TotalNumSgprs: 11
; NumVgprs: 7
; ScratchSize: 0
; MemoryBound: 0
; FloatMode: 240
; IeeeMode: 1
; LDSByteSize: 4096 bytes/workgroup (compile time only)
; SGPRBlocks: 1
; VGPRBlocks: 1
; NumSGPRsForWavesPerEU: 11
; NumVGPRsForWavesPerEU: 7
; Occupancy: 10
; WaveLimiterHint : 0
; COMPUTE_PGM_RSRC2:SCRATCH_EN: 0
; COMPUTE_PGM_RSRC2:USER_SGPR: 6
; COMPUTE_PGM_RSRC2:TRAP_HANDLER: 0
; COMPUTE_PGM_RSRC2:TGID_X_EN: 1
; COMPUTE_PGM_RSRC2:TGID_Y_EN: 0
; COMPUTE_PGM_RSRC2:TGID_Z_EN: 0
; COMPUTE_PGM_RSRC2:TIDIG_COMP_CNT: 0
	.section	.text._Z6kernelI10flag_headsxLj256ELj2ELb1ELj100EEvPKT0_PS1_,"axG",@progbits,_Z6kernelI10flag_headsxLj256ELj2ELb1ELj100EEvPKT0_PS1_,comdat
	.protected	_Z6kernelI10flag_headsxLj256ELj2ELb1ELj100EEvPKT0_PS1_ ; -- Begin function _Z6kernelI10flag_headsxLj256ELj2ELb1ELj100EEvPKT0_PS1_
	.globl	_Z6kernelI10flag_headsxLj256ELj2ELb1ELj100EEvPKT0_PS1_
	.p2align	8
	.type	_Z6kernelI10flag_headsxLj256ELj2ELb1ELj100EEvPKT0_PS1_,@function
_Z6kernelI10flag_headsxLj256ELj2ELb1ELj100EEvPKT0_PS1_: ; @_Z6kernelI10flag_headsxLj256ELj2ELb1ELj100EEvPKT0_PS1_
; %bb.0:
	s_load_dwordx4 s[8:11], s[4:5], 0x0
	s_lshl_b32 s0, s6, 9
	s_mov_b32 s1, 0
	s_lshl_b64 s[4:5], s[0:1], 3
	v_lshlrev_b32_e32 v7, 3, v0
	s_waitcnt lgkmcnt(0)
	s_add_u32 s0, s8, s4
	s_addc_u32 s1, s9, s5
	global_load_dwordx2 v[1:2], v7, s[0:1]
	global_load_dwordx2 v[3:4], v7, s[0:1] offset:2048
	v_cmp_ne_u32_e32 vcc, 0, v0
	v_add_u32_e32 v8, -8, v7
	s_movk_i32 s6, 0x64
	s_branch .LBB36_2
.LBB36_1:                               ;   in Loop: Header=BB36_2 Depth=1
	s_or_b64 exec, exec, s[0:1]
	s_waitcnt lgkmcnt(0)
	v_cmp_eq_u64_e64 s[2:3], v[5:6], v[1:2]
	v_cmp_eq_u64_e64 s[0:1], v[1:2], v[3:4]
	v_cndmask_b32_e64 v5, 0, 1, s[2:3]
	v_add_co_u32_e64 v1, s[2:3], v1, v5
	v_cndmask_b32_e64 v5, 0, 1, s[0:1]
	v_add_co_u32_e64 v3, s[0:1], v3, v5
	s_add_i32 s6, s6, -1
	v_addc_co_u32_e64 v2, s[2:3], 0, v2, s[2:3]
	v_addc_co_u32_e64 v4, s[0:1], 0, v4, s[0:1]
	s_cmp_lg_u32 s6, 0
	s_barrier
	s_cbranch_scc0 .LBB36_4
.LBB36_2:                               ; =>This Inner Loop Header: Depth=1
	v_mov_b32_e32 v5, 0x7b
	v_mov_b32_e32 v6, 0
	s_waitcnt vmcnt(0)
	ds_write_b64 v7, v[3:4]
	s_waitcnt lgkmcnt(0)
	s_barrier
	s_and_saveexec_b64 s[0:1], vcc
	s_cbranch_execz .LBB36_1
; %bb.3:                                ;   in Loop: Header=BB36_2 Depth=1
	ds_read_b64 v[5:6], v8
	s_branch .LBB36_1
.LBB36_4:
	s_add_u32 s0, s10, s4
	s_addc_u32 s1, s11, s5
	v_lshlrev_b32_e32 v0, 3, v0
	global_store_dwordx2 v0, v[1:2], s[0:1]
	global_store_dwordx2 v0, v[3:4], s[0:1] offset:2048
	s_endpgm
	.section	.rodata,"a",@progbits
	.p2align	6, 0x0
	.amdhsa_kernel _Z6kernelI10flag_headsxLj256ELj2ELb1ELj100EEvPKT0_PS1_
		.amdhsa_group_segment_fixed_size 4096
		.amdhsa_private_segment_fixed_size 0
		.amdhsa_kernarg_size 16
		.amdhsa_user_sgpr_count 6
		.amdhsa_user_sgpr_private_segment_buffer 1
		.amdhsa_user_sgpr_dispatch_ptr 0
		.amdhsa_user_sgpr_queue_ptr 0
		.amdhsa_user_sgpr_kernarg_segment_ptr 1
		.amdhsa_user_sgpr_dispatch_id 0
		.amdhsa_user_sgpr_flat_scratch_init 0
		.amdhsa_user_sgpr_private_segment_size 0
		.amdhsa_uses_dynamic_stack 0
		.amdhsa_system_sgpr_private_segment_wavefront_offset 0
		.amdhsa_system_sgpr_workgroup_id_x 1
		.amdhsa_system_sgpr_workgroup_id_y 0
		.amdhsa_system_sgpr_workgroup_id_z 0
		.amdhsa_system_sgpr_workgroup_info 0
		.amdhsa_system_vgpr_workitem_id 0
		.amdhsa_next_free_vgpr 9
		.amdhsa_next_free_sgpr 12
		.amdhsa_reserve_vcc 1
		.amdhsa_reserve_flat_scratch 0
		.amdhsa_float_round_mode_32 0
		.amdhsa_float_round_mode_16_64 0
		.amdhsa_float_denorm_mode_32 3
		.amdhsa_float_denorm_mode_16_64 3
		.amdhsa_dx10_clamp 1
		.amdhsa_ieee_mode 1
		.amdhsa_fp16_overflow 0
		.amdhsa_exception_fp_ieee_invalid_op 0
		.amdhsa_exception_fp_denorm_src 0
		.amdhsa_exception_fp_ieee_div_zero 0
		.amdhsa_exception_fp_ieee_overflow 0
		.amdhsa_exception_fp_ieee_underflow 0
		.amdhsa_exception_fp_ieee_inexact 0
		.amdhsa_exception_int_div_zero 0
	.end_amdhsa_kernel
	.section	.text._Z6kernelI10flag_headsxLj256ELj2ELb1ELj100EEvPKT0_PS1_,"axG",@progbits,_Z6kernelI10flag_headsxLj256ELj2ELb1ELj100EEvPKT0_PS1_,comdat
.Lfunc_end36:
	.size	_Z6kernelI10flag_headsxLj256ELj2ELb1ELj100EEvPKT0_PS1_, .Lfunc_end36-_Z6kernelI10flag_headsxLj256ELj2ELb1ELj100EEvPKT0_PS1_
                                        ; -- End function
	.set _Z6kernelI10flag_headsxLj256ELj2ELb1ELj100EEvPKT0_PS1_.num_vgpr, 9
	.set _Z6kernelI10flag_headsxLj256ELj2ELb1ELj100EEvPKT0_PS1_.num_agpr, 0
	.set _Z6kernelI10flag_headsxLj256ELj2ELb1ELj100EEvPKT0_PS1_.numbered_sgpr, 12
	.set _Z6kernelI10flag_headsxLj256ELj2ELb1ELj100EEvPKT0_PS1_.num_named_barrier, 0
	.set _Z6kernelI10flag_headsxLj256ELj2ELb1ELj100EEvPKT0_PS1_.private_seg_size, 0
	.set _Z6kernelI10flag_headsxLj256ELj2ELb1ELj100EEvPKT0_PS1_.uses_vcc, 1
	.set _Z6kernelI10flag_headsxLj256ELj2ELb1ELj100EEvPKT0_PS1_.uses_flat_scratch, 0
	.set _Z6kernelI10flag_headsxLj256ELj2ELb1ELj100EEvPKT0_PS1_.has_dyn_sized_stack, 0
	.set _Z6kernelI10flag_headsxLj256ELj2ELb1ELj100EEvPKT0_PS1_.has_recursion, 0
	.set _Z6kernelI10flag_headsxLj256ELj2ELb1ELj100EEvPKT0_PS1_.has_indirect_call, 0
	.section	.AMDGPU.csdata,"",@progbits
; Kernel info:
; codeLenInByte = 240
; TotalNumSgprs: 16
; NumVgprs: 9
; ScratchSize: 0
; MemoryBound: 0
; FloatMode: 240
; IeeeMode: 1
; LDSByteSize: 4096 bytes/workgroup (compile time only)
; SGPRBlocks: 1
; VGPRBlocks: 2
; NumSGPRsForWavesPerEU: 16
; NumVGPRsForWavesPerEU: 9
; Occupancy: 10
; WaveLimiterHint : 1
; COMPUTE_PGM_RSRC2:SCRATCH_EN: 0
; COMPUTE_PGM_RSRC2:USER_SGPR: 6
; COMPUTE_PGM_RSRC2:TRAP_HANDLER: 0
; COMPUTE_PGM_RSRC2:TGID_X_EN: 1
; COMPUTE_PGM_RSRC2:TGID_Y_EN: 0
; COMPUTE_PGM_RSRC2:TGID_Z_EN: 0
; COMPUTE_PGM_RSRC2:TIDIG_COMP_CNT: 0
	.section	.text._Z6kernelI10flag_headsxLj256ELj3ELb1ELj100EEvPKT0_PS1_,"axG",@progbits,_Z6kernelI10flag_headsxLj256ELj3ELb1ELj100EEvPKT0_PS1_,comdat
	.protected	_Z6kernelI10flag_headsxLj256ELj3ELb1ELj100EEvPKT0_PS1_ ; -- Begin function _Z6kernelI10flag_headsxLj256ELj3ELb1ELj100EEvPKT0_PS1_
	.globl	_Z6kernelI10flag_headsxLj256ELj3ELb1ELj100EEvPKT0_PS1_
	.p2align	8
	.type	_Z6kernelI10flag_headsxLj256ELj3ELb1ELj100EEvPKT0_PS1_,@function
_Z6kernelI10flag_headsxLj256ELj3ELb1ELj100EEvPKT0_PS1_: ; @_Z6kernelI10flag_headsxLj256ELj3ELb1ELj100EEvPKT0_PS1_
; %bb.0:
	s_load_dwordx4 s[8:11], s[4:5], 0x0
	s_mul_i32 s0, s6, 0x300
	s_mov_b32 s1, 0
	s_lshl_b64 s[6:7], s[0:1], 3
	v_lshlrev_b32_e32 v9, 3, v0
	s_waitcnt lgkmcnt(0)
	s_add_u32 s0, s8, s6
	s_addc_u32 s1, s9, s7
	v_mov_b32_e32 v1, s1
	v_add_co_u32_e32 v2, vcc, s0, v9
	v_addc_co_u32_e32 v1, vcc, 0, v1, vcc
	v_add_co_u32_e32 v7, vcc, 0x1000, v2
	v_addc_co_u32_e32 v8, vcc, 0, v1, vcc
	global_load_dwordx2 v[3:4], v9, s[0:1]
	global_load_dwordx2 v[5:6], v9, s[0:1] offset:2048
	global_load_dwordx2 v[1:2], v[7:8], off
	v_cmp_ne_u32_e32 vcc, 0, v0
	v_add_u32_e32 v10, -8, v9
	s_movk_i32 s8, 0x64
	s_branch .LBB37_2
.LBB37_1:                               ;   in Loop: Header=BB37_2 Depth=1
	s_or_b64 exec, exec, s[0:1]
	s_waitcnt lgkmcnt(0)
	v_cmp_eq_u64_e64 s[4:5], v[7:8], v[3:4]
	v_cmp_eq_u64_e64 s[2:3], v[3:4], v[5:6]
	v_cmp_eq_u64_e64 s[0:1], v[5:6], v[1:2]
	v_cndmask_b32_e64 v7, 0, 1, s[4:5]
	v_add_co_u32_e64 v3, s[4:5], v3, v7
	v_cndmask_b32_e64 v7, 0, 1, s[2:3]
	v_add_co_u32_e64 v5, s[2:3], v5, v7
	v_cndmask_b32_e64 v7, 0, 1, s[0:1]
	v_add_co_u32_e64 v1, s[0:1], v1, v7
	s_add_i32 s8, s8, -1
	v_addc_co_u32_e64 v4, s[4:5], 0, v4, s[4:5]
	v_addc_co_u32_e64 v6, s[2:3], 0, v6, s[2:3]
	;; [unrolled: 1-line block ×3, first 2 shown]
	s_cmp_lg_u32 s8, 0
	s_barrier
	s_cbranch_scc0 .LBB37_4
.LBB37_2:                               ; =>This Inner Loop Header: Depth=1
	v_mov_b32_e32 v7, 0x7b
	v_mov_b32_e32 v8, 0
	s_waitcnt vmcnt(0)
	ds_write_b64 v9, v[1:2]
	s_waitcnt lgkmcnt(0)
	s_barrier
	s_and_saveexec_b64 s[0:1], vcc
	s_cbranch_execz .LBB37_1
; %bb.3:                                ;   in Loop: Header=BB37_2 Depth=1
	ds_read_b64 v[7:8], v10
	s_branch .LBB37_1
.LBB37_4:
	s_add_u32 s0, s10, s6
	s_addc_u32 s1, s11, s7
	v_lshlrev_b32_e32 v0, 3, v0
	v_mov_b32_e32 v7, s1
	v_add_co_u32_e32 v8, vcc, s0, v0
	v_addc_co_u32_e32 v7, vcc, 0, v7, vcc
	global_store_dwordx2 v0, v[3:4], s[0:1]
	global_store_dwordx2 v0, v[5:6], s[0:1] offset:2048
	v_add_co_u32_e32 v3, vcc, 0x1000, v8
	v_addc_co_u32_e32 v4, vcc, 0, v7, vcc
	global_store_dwordx2 v[3:4], v[1:2], off
	s_endpgm
	.section	.rodata,"a",@progbits
	.p2align	6, 0x0
	.amdhsa_kernel _Z6kernelI10flag_headsxLj256ELj3ELb1ELj100EEvPKT0_PS1_
		.amdhsa_group_segment_fixed_size 4096
		.amdhsa_private_segment_fixed_size 0
		.amdhsa_kernarg_size 16
		.amdhsa_user_sgpr_count 6
		.amdhsa_user_sgpr_private_segment_buffer 1
		.amdhsa_user_sgpr_dispatch_ptr 0
		.amdhsa_user_sgpr_queue_ptr 0
		.amdhsa_user_sgpr_kernarg_segment_ptr 1
		.amdhsa_user_sgpr_dispatch_id 0
		.amdhsa_user_sgpr_flat_scratch_init 0
		.amdhsa_user_sgpr_private_segment_size 0
		.amdhsa_uses_dynamic_stack 0
		.amdhsa_system_sgpr_private_segment_wavefront_offset 0
		.amdhsa_system_sgpr_workgroup_id_x 1
		.amdhsa_system_sgpr_workgroup_id_y 0
		.amdhsa_system_sgpr_workgroup_id_z 0
		.amdhsa_system_sgpr_workgroup_info 0
		.amdhsa_system_vgpr_workitem_id 0
		.amdhsa_next_free_vgpr 11
		.amdhsa_next_free_sgpr 12
		.amdhsa_reserve_vcc 1
		.amdhsa_reserve_flat_scratch 0
		.amdhsa_float_round_mode_32 0
		.amdhsa_float_round_mode_16_64 0
		.amdhsa_float_denorm_mode_32 3
		.amdhsa_float_denorm_mode_16_64 3
		.amdhsa_dx10_clamp 1
		.amdhsa_ieee_mode 1
		.amdhsa_fp16_overflow 0
		.amdhsa_exception_fp_ieee_invalid_op 0
		.amdhsa_exception_fp_denorm_src 0
		.amdhsa_exception_fp_ieee_div_zero 0
		.amdhsa_exception_fp_ieee_overflow 0
		.amdhsa_exception_fp_ieee_underflow 0
		.amdhsa_exception_fp_ieee_inexact 0
		.amdhsa_exception_int_div_zero 0
	.end_amdhsa_kernel
	.section	.text._Z6kernelI10flag_headsxLj256ELj3ELb1ELj100EEvPKT0_PS1_,"axG",@progbits,_Z6kernelI10flag_headsxLj256ELj3ELb1ELj100EEvPKT0_PS1_,comdat
.Lfunc_end37:
	.size	_Z6kernelI10flag_headsxLj256ELj3ELb1ELj100EEvPKT0_PS1_, .Lfunc_end37-_Z6kernelI10flag_headsxLj256ELj3ELb1ELj100EEvPKT0_PS1_
                                        ; -- End function
	.set _Z6kernelI10flag_headsxLj256ELj3ELb1ELj100EEvPKT0_PS1_.num_vgpr, 11
	.set _Z6kernelI10flag_headsxLj256ELj3ELb1ELj100EEvPKT0_PS1_.num_agpr, 0
	.set _Z6kernelI10flag_headsxLj256ELj3ELb1ELj100EEvPKT0_PS1_.numbered_sgpr, 12
	.set _Z6kernelI10flag_headsxLj256ELj3ELb1ELj100EEvPKT0_PS1_.num_named_barrier, 0
	.set _Z6kernelI10flag_headsxLj256ELj3ELb1ELj100EEvPKT0_PS1_.private_seg_size, 0
	.set _Z6kernelI10flag_headsxLj256ELj3ELb1ELj100EEvPKT0_PS1_.uses_vcc, 1
	.set _Z6kernelI10flag_headsxLj256ELj3ELb1ELj100EEvPKT0_PS1_.uses_flat_scratch, 0
	.set _Z6kernelI10flag_headsxLj256ELj3ELb1ELj100EEvPKT0_PS1_.has_dyn_sized_stack, 0
	.set _Z6kernelI10flag_headsxLj256ELj3ELb1ELj100EEvPKT0_PS1_.has_recursion, 0
	.set _Z6kernelI10flag_headsxLj256ELj3ELb1ELj100EEvPKT0_PS1_.has_indirect_call, 0
	.section	.AMDGPU.csdata,"",@progbits
; Kernel info:
; codeLenInByte = 340
; TotalNumSgprs: 16
; NumVgprs: 11
; ScratchSize: 0
; MemoryBound: 0
; FloatMode: 240
; IeeeMode: 1
; LDSByteSize: 4096 bytes/workgroup (compile time only)
; SGPRBlocks: 1
; VGPRBlocks: 2
; NumSGPRsForWavesPerEU: 16
; NumVGPRsForWavesPerEU: 11
; Occupancy: 10
; WaveLimiterHint : 1
; COMPUTE_PGM_RSRC2:SCRATCH_EN: 0
; COMPUTE_PGM_RSRC2:USER_SGPR: 6
; COMPUTE_PGM_RSRC2:TRAP_HANDLER: 0
; COMPUTE_PGM_RSRC2:TGID_X_EN: 1
; COMPUTE_PGM_RSRC2:TGID_Y_EN: 0
; COMPUTE_PGM_RSRC2:TGID_Z_EN: 0
; COMPUTE_PGM_RSRC2:TIDIG_COMP_CNT: 0
	.section	.text._Z6kernelI10flag_headsxLj256ELj4ELb1ELj100EEvPKT0_PS1_,"axG",@progbits,_Z6kernelI10flag_headsxLj256ELj4ELb1ELj100EEvPKT0_PS1_,comdat
	.protected	_Z6kernelI10flag_headsxLj256ELj4ELb1ELj100EEvPKT0_PS1_ ; -- Begin function _Z6kernelI10flag_headsxLj256ELj4ELb1ELj100EEvPKT0_PS1_
	.globl	_Z6kernelI10flag_headsxLj256ELj4ELb1ELj100EEvPKT0_PS1_
	.p2align	8
	.type	_Z6kernelI10flag_headsxLj256ELj4ELb1ELj100EEvPKT0_PS1_,@function
_Z6kernelI10flag_headsxLj256ELj4ELb1ELj100EEvPKT0_PS1_: ; @_Z6kernelI10flag_headsxLj256ELj4ELb1ELj100EEvPKT0_PS1_
; %bb.0:
	s_load_dwordx4 s[8:11], s[4:5], 0x0
	s_lshl_b32 s0, s6, 10
	s_mov_b32 s1, 0
	s_lshl_b64 s[12:13], s[0:1], 3
	v_lshlrev_b32_e32 v11, 3, v0
	s_waitcnt lgkmcnt(0)
	s_add_u32 s0, s8, s12
	s_addc_u32 s1, s9, s13
	v_mov_b32_e32 v1, s1
	v_add_co_u32_e32 v2, vcc, s0, v11
	v_addc_co_u32_e32 v1, vcc, 0, v1, vcc
	v_add_co_u32_e32 v9, vcc, 0x1000, v2
	v_addc_co_u32_e32 v10, vcc, 0, v1, vcc
	global_load_dwordx2 v[5:6], v11, s[0:1]
	global_load_dwordx2 v[7:8], v11, s[0:1] offset:2048
	global_load_dwordx2 v[1:2], v[9:10], off
	global_load_dwordx2 v[3:4], v[9:10], off offset:2048
	v_cmp_ne_u32_e32 vcc, 0, v0
	v_add_u32_e32 v12, -8, v11
	s_movk_i32 s8, 0x64
	s_branch .LBB38_2
.LBB38_1:                               ;   in Loop: Header=BB38_2 Depth=1
	s_or_b64 exec, exec, s[0:1]
	s_waitcnt lgkmcnt(0)
	v_cmp_eq_u64_e64 s[6:7], v[9:10], v[5:6]
	v_cmp_eq_u64_e64 s[4:5], v[5:6], v[7:8]
	;; [unrolled: 1-line block ×3, first 2 shown]
	v_cndmask_b32_e64 v9, 0, 1, s[6:7]
	v_cmp_eq_u64_e64 s[0:1], v[1:2], v[3:4]
	v_add_co_u32_e64 v5, s[6:7], v5, v9
	v_cndmask_b32_e64 v9, 0, 1, s[4:5]
	v_add_co_u32_e64 v7, s[4:5], v7, v9
	v_cndmask_b32_e64 v9, 0, 1, s[2:3]
	v_add_co_u32_e64 v1, s[2:3], v1, v9
	v_cndmask_b32_e64 v9, 0, 1, s[0:1]
	v_add_co_u32_e64 v3, s[0:1], v3, v9
	s_add_i32 s8, s8, -1
	v_addc_co_u32_e64 v6, s[6:7], 0, v6, s[6:7]
	v_addc_co_u32_e64 v8, s[4:5], 0, v8, s[4:5]
	;; [unrolled: 1-line block ×4, first 2 shown]
	s_cmp_lg_u32 s8, 0
	s_barrier
	s_cbranch_scc0 .LBB38_4
.LBB38_2:                               ; =>This Inner Loop Header: Depth=1
	v_mov_b32_e32 v9, 0x7b
	v_mov_b32_e32 v10, 0
	s_waitcnt vmcnt(0)
	ds_write_b64 v11, v[3:4]
	s_waitcnt lgkmcnt(0)
	s_barrier
	s_and_saveexec_b64 s[0:1], vcc
	s_cbranch_execz .LBB38_1
; %bb.3:                                ;   in Loop: Header=BB38_2 Depth=1
	ds_read_b64 v[9:10], v12
	s_branch .LBB38_1
.LBB38_4:
	s_add_u32 s0, s10, s12
	s_addc_u32 s1, s11, s13
	v_lshlrev_b32_e32 v0, 3, v0
	v_mov_b32_e32 v9, s1
	v_add_co_u32_e32 v10, vcc, s0, v0
	v_addc_co_u32_e32 v9, vcc, 0, v9, vcc
	global_store_dwordx2 v0, v[5:6], s[0:1]
	global_store_dwordx2 v0, v[7:8], s[0:1] offset:2048
	v_add_co_u32_e32 v5, vcc, 0x1000, v10
	v_addc_co_u32_e32 v6, vcc, 0, v9, vcc
	global_store_dwordx2 v[5:6], v[1:2], off
	global_store_dwordx2 v[5:6], v[3:4], off offset:2048
	s_endpgm
	.section	.rodata,"a",@progbits
	.p2align	6, 0x0
	.amdhsa_kernel _Z6kernelI10flag_headsxLj256ELj4ELb1ELj100EEvPKT0_PS1_
		.amdhsa_group_segment_fixed_size 4096
		.amdhsa_private_segment_fixed_size 0
		.amdhsa_kernarg_size 16
		.amdhsa_user_sgpr_count 6
		.amdhsa_user_sgpr_private_segment_buffer 1
		.amdhsa_user_sgpr_dispatch_ptr 0
		.amdhsa_user_sgpr_queue_ptr 0
		.amdhsa_user_sgpr_kernarg_segment_ptr 1
		.amdhsa_user_sgpr_dispatch_id 0
		.amdhsa_user_sgpr_flat_scratch_init 0
		.amdhsa_user_sgpr_private_segment_size 0
		.amdhsa_uses_dynamic_stack 0
		.amdhsa_system_sgpr_private_segment_wavefront_offset 0
		.amdhsa_system_sgpr_workgroup_id_x 1
		.amdhsa_system_sgpr_workgroup_id_y 0
		.amdhsa_system_sgpr_workgroup_id_z 0
		.amdhsa_system_sgpr_workgroup_info 0
		.amdhsa_system_vgpr_workitem_id 0
		.amdhsa_next_free_vgpr 13
		.amdhsa_next_free_sgpr 14
		.amdhsa_reserve_vcc 1
		.amdhsa_reserve_flat_scratch 0
		.amdhsa_float_round_mode_32 0
		.amdhsa_float_round_mode_16_64 0
		.amdhsa_float_denorm_mode_32 3
		.amdhsa_float_denorm_mode_16_64 3
		.amdhsa_dx10_clamp 1
		.amdhsa_ieee_mode 1
		.amdhsa_fp16_overflow 0
		.amdhsa_exception_fp_ieee_invalid_op 0
		.amdhsa_exception_fp_denorm_src 0
		.amdhsa_exception_fp_ieee_div_zero 0
		.amdhsa_exception_fp_ieee_overflow 0
		.amdhsa_exception_fp_ieee_underflow 0
		.amdhsa_exception_fp_ieee_inexact 0
		.amdhsa_exception_int_div_zero 0
	.end_amdhsa_kernel
	.section	.text._Z6kernelI10flag_headsxLj256ELj4ELb1ELj100EEvPKT0_PS1_,"axG",@progbits,_Z6kernelI10flag_headsxLj256ELj4ELb1ELj100EEvPKT0_PS1_,comdat
.Lfunc_end38:
	.size	_Z6kernelI10flag_headsxLj256ELj4ELb1ELj100EEvPKT0_PS1_, .Lfunc_end38-_Z6kernelI10flag_headsxLj256ELj4ELb1ELj100EEvPKT0_PS1_
                                        ; -- End function
	.set _Z6kernelI10flag_headsxLj256ELj4ELb1ELj100EEvPKT0_PS1_.num_vgpr, 13
	.set _Z6kernelI10flag_headsxLj256ELj4ELb1ELj100EEvPKT0_PS1_.num_agpr, 0
	.set _Z6kernelI10flag_headsxLj256ELj4ELb1ELj100EEvPKT0_PS1_.numbered_sgpr, 14
	.set _Z6kernelI10flag_headsxLj256ELj4ELb1ELj100EEvPKT0_PS1_.num_named_barrier, 0
	.set _Z6kernelI10flag_headsxLj256ELj4ELb1ELj100EEvPKT0_PS1_.private_seg_size, 0
	.set _Z6kernelI10flag_headsxLj256ELj4ELb1ELj100EEvPKT0_PS1_.uses_vcc, 1
	.set _Z6kernelI10flag_headsxLj256ELj4ELb1ELj100EEvPKT0_PS1_.uses_flat_scratch, 0
	.set _Z6kernelI10flag_headsxLj256ELj4ELb1ELj100EEvPKT0_PS1_.has_dyn_sized_stack, 0
	.set _Z6kernelI10flag_headsxLj256ELj4ELb1ELj100EEvPKT0_PS1_.has_recursion, 0
	.set _Z6kernelI10flag_headsxLj256ELj4ELb1ELj100EEvPKT0_PS1_.has_indirect_call, 0
	.section	.AMDGPU.csdata,"",@progbits
; Kernel info:
; codeLenInByte = 384
; TotalNumSgprs: 18
; NumVgprs: 13
; ScratchSize: 0
; MemoryBound: 0
; FloatMode: 240
; IeeeMode: 1
; LDSByteSize: 4096 bytes/workgroup (compile time only)
; SGPRBlocks: 2
; VGPRBlocks: 3
; NumSGPRsForWavesPerEU: 18
; NumVGPRsForWavesPerEU: 13
; Occupancy: 10
; WaveLimiterHint : 1
; COMPUTE_PGM_RSRC2:SCRATCH_EN: 0
; COMPUTE_PGM_RSRC2:USER_SGPR: 6
; COMPUTE_PGM_RSRC2:TRAP_HANDLER: 0
; COMPUTE_PGM_RSRC2:TGID_X_EN: 1
; COMPUTE_PGM_RSRC2:TGID_Y_EN: 0
; COMPUTE_PGM_RSRC2:TGID_Z_EN: 0
; COMPUTE_PGM_RSRC2:TIDIG_COMP_CNT: 0
	.section	.text._Z6kernelI10flag_headsxLj256ELj8ELb1ELj100EEvPKT0_PS1_,"axG",@progbits,_Z6kernelI10flag_headsxLj256ELj8ELb1ELj100EEvPKT0_PS1_,comdat
	.protected	_Z6kernelI10flag_headsxLj256ELj8ELb1ELj100EEvPKT0_PS1_ ; -- Begin function _Z6kernelI10flag_headsxLj256ELj8ELb1ELj100EEvPKT0_PS1_
	.globl	_Z6kernelI10flag_headsxLj256ELj8ELb1ELj100EEvPKT0_PS1_
	.p2align	8
	.type	_Z6kernelI10flag_headsxLj256ELj8ELb1ELj100EEvPKT0_PS1_,@function
_Z6kernelI10flag_headsxLj256ELj8ELb1ELj100EEvPKT0_PS1_: ; @_Z6kernelI10flag_headsxLj256ELj8ELb1ELj100EEvPKT0_PS1_
; %bb.0:
	s_load_dwordx4 s[16:19], s[4:5], 0x0
	s_lshl_b32 s0, s6, 11
	s_mov_b32 s1, 0
	s_lshl_b64 s[20:21], s[0:1], 3
	v_lshlrev_b32_e32 v19, 3, v0
	s_waitcnt lgkmcnt(0)
	s_add_u32 s0, s16, s20
	s_addc_u32 s1, s17, s21
	v_mov_b32_e32 v1, s1
	v_add_co_u32_e32 v2, vcc, s0, v19
	v_addc_co_u32_e32 v1, vcc, 0, v1, vcc
	s_movk_i32 s2, 0x1000
	v_add_co_u32_e32 v17, vcc, s2, v2
	v_addc_co_u32_e32 v18, vcc, 0, v1, vcc
	s_movk_i32 s2, 0x2000
	v_add_co_u32_e32 v20, vcc, s2, v2
	v_addc_co_u32_e32 v21, vcc, 0, v1, vcc
	v_add_co_u32_e32 v22, vcc, 0x3000, v2
	v_addc_co_u32_e32 v23, vcc, 0, v1, vcc
	global_load_dwordx2 v[13:14], v19, s[0:1]
	global_load_dwordx2 v[15:16], v19, s[0:1] offset:2048
	global_load_dwordx2 v[9:10], v[17:18], off offset:2048
	global_load_dwordx2 v[1:2], v[22:23], off
	global_load_dwordx2 v[11:12], v[20:21], off offset:-4096
	global_load_dwordx2 v[5:6], v[20:21], off
	global_load_dwordx2 v[7:8], v[20:21], off offset:2048
	global_load_dwordx2 v[3:4], v[22:23], off offset:2048
	v_cmp_ne_u32_e32 vcc, 0, v0
	v_add_u32_e32 v20, -8, v19
	s_movk_i32 s16, 0x64
	s_branch .LBB39_2
.LBB39_1:                               ;   in Loop: Header=BB39_2 Depth=1
	s_or_b64 exec, exec, s[0:1]
	s_waitcnt lgkmcnt(0)
	v_cmp_eq_u64_e64 s[14:15], v[17:18], v[13:14]
	v_cmp_eq_u64_e64 s[12:13], v[13:14], v[15:16]
	;; [unrolled: 1-line block ×3, first 2 shown]
	v_cndmask_b32_e64 v17, 0, 1, s[14:15]
	v_cmp_eq_u64_e64 s[8:9], v[11:12], v[9:10]
	v_add_co_u32_e64 v13, s[14:15], v13, v17
	v_cndmask_b32_e64 v17, 0, 1, s[12:13]
	v_cmp_eq_u64_e64 s[6:7], v[9:10], v[5:6]
	v_add_co_u32_e64 v15, s[12:13], v15, v17
	;; [unrolled: 3-line block ×5, first 2 shown]
	v_cndmask_b32_e64 v17, 0, 1, s[4:5]
	v_add_co_u32_e64 v7, s[4:5], v7, v17
	v_cndmask_b32_e64 v17, 0, 1, s[2:3]
	v_add_co_u32_e64 v1, s[2:3], v1, v17
	;; [unrolled: 2-line block ×3, first 2 shown]
	s_add_i32 s16, s16, -1
	v_addc_co_u32_e64 v14, s[14:15], 0, v14, s[14:15]
	v_addc_co_u32_e64 v16, s[12:13], 0, v16, s[12:13]
	;; [unrolled: 1-line block ×8, first 2 shown]
	s_cmp_lg_u32 s16, 0
	s_barrier
	s_cbranch_scc0 .LBB39_4
.LBB39_2:                               ; =>This Inner Loop Header: Depth=1
	v_mov_b32_e32 v17, 0x7b
	v_mov_b32_e32 v18, 0
	s_waitcnt vmcnt(0)
	ds_write_b64 v19, v[3:4]
	s_waitcnt lgkmcnt(0)
	s_barrier
	s_and_saveexec_b64 s[0:1], vcc
	s_cbranch_execz .LBB39_1
; %bb.3:                                ;   in Loop: Header=BB39_2 Depth=1
	ds_read_b64 v[17:18], v20
	s_branch .LBB39_1
.LBB39_4:
	s_add_u32 s0, s18, s20
	s_addc_u32 s1, s19, s21
	v_lshlrev_b32_e32 v0, 3, v0
	v_mov_b32_e32 v17, s1
	v_add_co_u32_e32 v18, vcc, s0, v0
	v_addc_co_u32_e32 v17, vcc, 0, v17, vcc
	global_store_dwordx2 v0, v[13:14], s[0:1]
	global_store_dwordx2 v0, v[15:16], s[0:1] offset:2048
	v_add_co_u32_e32 v13, vcc, 0x1000, v18
	v_addc_co_u32_e32 v14, vcc, 0, v17, vcc
	global_store_dwordx2 v[13:14], v[11:12], off
	global_store_dwordx2 v[13:14], v[9:10], off offset:2048
	v_add_co_u32_e32 v9, vcc, 0x2000, v18
	v_addc_co_u32_e32 v10, vcc, 0, v17, vcc
	global_store_dwordx2 v[9:10], v[5:6], off
	global_store_dwordx2 v[9:10], v[7:8], off offset:2048
	;; [unrolled: 4-line block ×3, first 2 shown]
	s_endpgm
	.section	.rodata,"a",@progbits
	.p2align	6, 0x0
	.amdhsa_kernel _Z6kernelI10flag_headsxLj256ELj8ELb1ELj100EEvPKT0_PS1_
		.amdhsa_group_segment_fixed_size 4096
		.amdhsa_private_segment_fixed_size 0
		.amdhsa_kernarg_size 16
		.amdhsa_user_sgpr_count 6
		.amdhsa_user_sgpr_private_segment_buffer 1
		.amdhsa_user_sgpr_dispatch_ptr 0
		.amdhsa_user_sgpr_queue_ptr 0
		.amdhsa_user_sgpr_kernarg_segment_ptr 1
		.amdhsa_user_sgpr_dispatch_id 0
		.amdhsa_user_sgpr_flat_scratch_init 0
		.amdhsa_user_sgpr_private_segment_size 0
		.amdhsa_uses_dynamic_stack 0
		.amdhsa_system_sgpr_private_segment_wavefront_offset 0
		.amdhsa_system_sgpr_workgroup_id_x 1
		.amdhsa_system_sgpr_workgroup_id_y 0
		.amdhsa_system_sgpr_workgroup_id_z 0
		.amdhsa_system_sgpr_workgroup_info 0
		.amdhsa_system_vgpr_workitem_id 0
		.amdhsa_next_free_vgpr 24
		.amdhsa_next_free_sgpr 22
		.amdhsa_reserve_vcc 1
		.amdhsa_reserve_flat_scratch 0
		.amdhsa_float_round_mode_32 0
		.amdhsa_float_round_mode_16_64 0
		.amdhsa_float_denorm_mode_32 3
		.amdhsa_float_denorm_mode_16_64 3
		.amdhsa_dx10_clamp 1
		.amdhsa_ieee_mode 1
		.amdhsa_fp16_overflow 0
		.amdhsa_exception_fp_ieee_invalid_op 0
		.amdhsa_exception_fp_denorm_src 0
		.amdhsa_exception_fp_ieee_div_zero 0
		.amdhsa_exception_fp_ieee_overflow 0
		.amdhsa_exception_fp_ieee_underflow 0
		.amdhsa_exception_fp_ieee_inexact 0
		.amdhsa_exception_int_div_zero 0
	.end_amdhsa_kernel
	.section	.text._Z6kernelI10flag_headsxLj256ELj8ELb1ELj100EEvPKT0_PS1_,"axG",@progbits,_Z6kernelI10flag_headsxLj256ELj8ELb1ELj100EEvPKT0_PS1_,comdat
.Lfunc_end39:
	.size	_Z6kernelI10flag_headsxLj256ELj8ELb1ELj100EEvPKT0_PS1_, .Lfunc_end39-_Z6kernelI10flag_headsxLj256ELj8ELb1ELj100EEvPKT0_PS1_
                                        ; -- End function
	.set _Z6kernelI10flag_headsxLj256ELj8ELb1ELj100EEvPKT0_PS1_.num_vgpr, 24
	.set _Z6kernelI10flag_headsxLj256ELj8ELb1ELj100EEvPKT0_PS1_.num_agpr, 0
	.set _Z6kernelI10flag_headsxLj256ELj8ELb1ELj100EEvPKT0_PS1_.numbered_sgpr, 22
	.set _Z6kernelI10flag_headsxLj256ELj8ELb1ELj100EEvPKT0_PS1_.num_named_barrier, 0
	.set _Z6kernelI10flag_headsxLj256ELj8ELb1ELj100EEvPKT0_PS1_.private_seg_size, 0
	.set _Z6kernelI10flag_headsxLj256ELj8ELb1ELj100EEvPKT0_PS1_.uses_vcc, 1
	.set _Z6kernelI10flag_headsxLj256ELj8ELb1ELj100EEvPKT0_PS1_.uses_flat_scratch, 0
	.set _Z6kernelI10flag_headsxLj256ELj8ELb1ELj100EEvPKT0_PS1_.has_dyn_sized_stack, 0
	.set _Z6kernelI10flag_headsxLj256ELj8ELb1ELj100EEvPKT0_PS1_.has_recursion, 0
	.set _Z6kernelI10flag_headsxLj256ELj8ELb1ELj100EEvPKT0_PS1_.has_indirect_call, 0
	.section	.AMDGPU.csdata,"",@progbits
; Kernel info:
; codeLenInByte = 624
; TotalNumSgprs: 26
; NumVgprs: 24
; ScratchSize: 0
; MemoryBound: 0
; FloatMode: 240
; IeeeMode: 1
; LDSByteSize: 4096 bytes/workgroup (compile time only)
; SGPRBlocks: 3
; VGPRBlocks: 5
; NumSGPRsForWavesPerEU: 26
; NumVGPRsForWavesPerEU: 24
; Occupancy: 10
; WaveLimiterHint : 1
; COMPUTE_PGM_RSRC2:SCRATCH_EN: 0
; COMPUTE_PGM_RSRC2:USER_SGPR: 6
; COMPUTE_PGM_RSRC2:TRAP_HANDLER: 0
; COMPUTE_PGM_RSRC2:TGID_X_EN: 1
; COMPUTE_PGM_RSRC2:TGID_Y_EN: 0
; COMPUTE_PGM_RSRC2:TGID_Z_EN: 0
; COMPUTE_PGM_RSRC2:TIDIG_COMP_CNT: 0
	.section	.text._Z6kernelI10flag_tailsiLj256ELj1ELb0ELj100EEvPKT0_PS1_,"axG",@progbits,_Z6kernelI10flag_tailsiLj256ELj1ELb0ELj100EEvPKT0_PS1_,comdat
	.protected	_Z6kernelI10flag_tailsiLj256ELj1ELb0ELj100EEvPKT0_PS1_ ; -- Begin function _Z6kernelI10flag_tailsiLj256ELj1ELb0ELj100EEvPKT0_PS1_
	.globl	_Z6kernelI10flag_tailsiLj256ELj1ELb0ELj100EEvPKT0_PS1_
	.p2align	8
	.type	_Z6kernelI10flag_tailsiLj256ELj1ELb0ELj100EEvPKT0_PS1_,@function
_Z6kernelI10flag_tailsiLj256ELj1ELb0ELj100EEvPKT0_PS1_: ; @_Z6kernelI10flag_tailsiLj256ELj1ELb0ELj100EEvPKT0_PS1_
; %bb.0:
	s_load_dwordx4 s[0:3], s[4:5], 0x0
	s_lshl_b32 s4, s6, 8
	s_mov_b32 s5, 0
	s_lshl_b64 s[4:5], s[4:5], 2
	v_lshlrev_b32_e32 v2, 2, v0
	s_waitcnt lgkmcnt(0)
	s_add_u32 s0, s0, s4
	s_addc_u32 s1, s1, s5
	global_load_dword v1, v2, s[0:1]
	s_movk_i32 s0, 0xff
	v_cmp_ne_u32_e32 vcc, s0, v0
	s_movk_i32 s8, 0x64
	s_branch .LBB40_2
.LBB40_1:                               ;   in Loop: Header=BB40_2 Depth=1
	s_or_b64 exec, exec, s[6:7]
	s_add_i32 s8, s8, -1
	v_add_u32_e32 v1, v3, v1
	s_cmp_lg_u32 s8, 0
	s_barrier
	s_cbranch_scc0 .LBB40_4
.LBB40_2:                               ; =>This Inner Loop Header: Depth=1
	v_mov_b32_e32 v3, 1
	s_waitcnt vmcnt(0)
	ds_write_b32 v2, v1 offset:1024
	s_waitcnt lgkmcnt(0)
	s_barrier
	s_and_saveexec_b64 s[6:7], vcc
	s_cbranch_execz .LBB40_1
; %bb.3:                                ;   in Loop: Header=BB40_2 Depth=1
	ds_read_b32 v3, v2 offset:1028
	s_waitcnt lgkmcnt(0)
	v_cmp_eq_u32_e64 s[0:1], v1, v3
	v_cndmask_b32_e64 v3, 0, 1, s[0:1]
	s_branch .LBB40_1
.LBB40_4:
	s_add_u32 s0, s2, s4
	s_addc_u32 s1, s3, s5
	v_lshlrev_b32_e32 v0, 2, v0
	global_store_dword v0, v1, s[0:1]
	s_endpgm
	.section	.rodata,"a",@progbits
	.p2align	6, 0x0
	.amdhsa_kernel _Z6kernelI10flag_tailsiLj256ELj1ELb0ELj100EEvPKT0_PS1_
		.amdhsa_group_segment_fixed_size 2048
		.amdhsa_private_segment_fixed_size 0
		.amdhsa_kernarg_size 16
		.amdhsa_user_sgpr_count 6
		.amdhsa_user_sgpr_private_segment_buffer 1
		.amdhsa_user_sgpr_dispatch_ptr 0
		.amdhsa_user_sgpr_queue_ptr 0
		.amdhsa_user_sgpr_kernarg_segment_ptr 1
		.amdhsa_user_sgpr_dispatch_id 0
		.amdhsa_user_sgpr_flat_scratch_init 0
		.amdhsa_user_sgpr_private_segment_size 0
		.amdhsa_uses_dynamic_stack 0
		.amdhsa_system_sgpr_private_segment_wavefront_offset 0
		.amdhsa_system_sgpr_workgroup_id_x 1
		.amdhsa_system_sgpr_workgroup_id_y 0
		.amdhsa_system_sgpr_workgroup_id_z 0
		.amdhsa_system_sgpr_workgroup_info 0
		.amdhsa_system_vgpr_workitem_id 0
		.amdhsa_next_free_vgpr 4
		.amdhsa_next_free_sgpr 9
		.amdhsa_reserve_vcc 1
		.amdhsa_reserve_flat_scratch 0
		.amdhsa_float_round_mode_32 0
		.amdhsa_float_round_mode_16_64 0
		.amdhsa_float_denorm_mode_32 3
		.amdhsa_float_denorm_mode_16_64 3
		.amdhsa_dx10_clamp 1
		.amdhsa_ieee_mode 1
		.amdhsa_fp16_overflow 0
		.amdhsa_exception_fp_ieee_invalid_op 0
		.amdhsa_exception_fp_denorm_src 0
		.amdhsa_exception_fp_ieee_div_zero 0
		.amdhsa_exception_fp_ieee_overflow 0
		.amdhsa_exception_fp_ieee_underflow 0
		.amdhsa_exception_fp_ieee_inexact 0
		.amdhsa_exception_int_div_zero 0
	.end_amdhsa_kernel
	.section	.text._Z6kernelI10flag_tailsiLj256ELj1ELb0ELj100EEvPKT0_PS1_,"axG",@progbits,_Z6kernelI10flag_tailsiLj256ELj1ELb0ELj100EEvPKT0_PS1_,comdat
.Lfunc_end40:
	.size	_Z6kernelI10flag_tailsiLj256ELj1ELb0ELj100EEvPKT0_PS1_, .Lfunc_end40-_Z6kernelI10flag_tailsiLj256ELj1ELb0ELj100EEvPKT0_PS1_
                                        ; -- End function
	.set _Z6kernelI10flag_tailsiLj256ELj1ELb0ELj100EEvPKT0_PS1_.num_vgpr, 4
	.set _Z6kernelI10flag_tailsiLj256ELj1ELb0ELj100EEvPKT0_PS1_.num_agpr, 0
	.set _Z6kernelI10flag_tailsiLj256ELj1ELb0ELj100EEvPKT0_PS1_.numbered_sgpr, 9
	.set _Z6kernelI10flag_tailsiLj256ELj1ELb0ELj100EEvPKT0_PS1_.num_named_barrier, 0
	.set _Z6kernelI10flag_tailsiLj256ELj1ELb0ELj100EEvPKT0_PS1_.private_seg_size, 0
	.set _Z6kernelI10flag_tailsiLj256ELj1ELb0ELj100EEvPKT0_PS1_.uses_vcc, 1
	.set _Z6kernelI10flag_tailsiLj256ELj1ELb0ELj100EEvPKT0_PS1_.uses_flat_scratch, 0
	.set _Z6kernelI10flag_tailsiLj256ELj1ELb0ELj100EEvPKT0_PS1_.has_dyn_sized_stack, 0
	.set _Z6kernelI10flag_tailsiLj256ELj1ELb0ELj100EEvPKT0_PS1_.has_recursion, 0
	.set _Z6kernelI10flag_tailsiLj256ELj1ELb0ELj100EEvPKT0_PS1_.has_indirect_call, 0
	.section	.AMDGPU.csdata,"",@progbits
; Kernel info:
; codeLenInByte = 172
; TotalNumSgprs: 13
; NumVgprs: 4
; ScratchSize: 0
; MemoryBound: 0
; FloatMode: 240
; IeeeMode: 1
; LDSByteSize: 2048 bytes/workgroup (compile time only)
; SGPRBlocks: 1
; VGPRBlocks: 0
; NumSGPRsForWavesPerEU: 13
; NumVGPRsForWavesPerEU: 4
; Occupancy: 10
; WaveLimiterHint : 0
; COMPUTE_PGM_RSRC2:SCRATCH_EN: 0
; COMPUTE_PGM_RSRC2:USER_SGPR: 6
; COMPUTE_PGM_RSRC2:TRAP_HANDLER: 0
; COMPUTE_PGM_RSRC2:TGID_X_EN: 1
; COMPUTE_PGM_RSRC2:TGID_Y_EN: 0
; COMPUTE_PGM_RSRC2:TGID_Z_EN: 0
; COMPUTE_PGM_RSRC2:TIDIG_COMP_CNT: 0
	.section	.text._Z6kernelI10flag_tailsiLj256ELj2ELb0ELj100EEvPKT0_PS1_,"axG",@progbits,_Z6kernelI10flag_tailsiLj256ELj2ELb0ELj100EEvPKT0_PS1_,comdat
	.protected	_Z6kernelI10flag_tailsiLj256ELj2ELb0ELj100EEvPKT0_PS1_ ; -- Begin function _Z6kernelI10flag_tailsiLj256ELj2ELb0ELj100EEvPKT0_PS1_
	.globl	_Z6kernelI10flag_tailsiLj256ELj2ELb0ELj100EEvPKT0_PS1_
	.p2align	8
	.type	_Z6kernelI10flag_tailsiLj256ELj2ELb0ELj100EEvPKT0_PS1_,@function
_Z6kernelI10flag_tailsiLj256ELj2ELb0ELj100EEvPKT0_PS1_: ; @_Z6kernelI10flag_tailsiLj256ELj2ELb0ELj100EEvPKT0_PS1_
; %bb.0:
	s_load_dwordx4 s[8:11], s[4:5], 0x0
	s_lshl_b32 s0, s6, 9
	s_mov_b32 s1, 0
	s_lshl_b64 s[4:5], s[0:1], 2
	v_lshlrev_b32_e32 v3, 2, v0
	s_waitcnt lgkmcnt(0)
	s_add_u32 s0, s8, s4
	s_addc_u32 s1, s9, s5
	global_load_dword v1, v3, s[0:1]
	global_load_dword v2, v3, s[0:1] offset:1024
	s_movk_i32 s0, 0xff
	v_cmp_ne_u32_e32 vcc, s0, v0
	s_movk_i32 s8, 0x64
	s_branch .LBB41_2
.LBB41_1:                               ;   in Loop: Header=BB41_2 Depth=1
	s_or_b64 exec, exec, s[6:7]
	v_cndmask_b32_e64 v5, 0, 1, s[0:1]
	s_add_i32 s8, s8, -1
	v_add_u32_sdwa v1, v1, v5 dst_sel:DWORD dst_unused:UNUSED_PAD src0_sel:DWORD src1_sel:BYTE_0
	v_add_u32_sdwa v2, v2, v4 dst_sel:DWORD dst_unused:UNUSED_PAD src0_sel:DWORD src1_sel:BYTE_0
	s_cmp_lg_u32 s8, 0
	s_barrier
	s_cbranch_scc0 .LBB41_4
.LBB41_2:                               ; =>This Inner Loop Header: Depth=1
	s_waitcnt vmcnt(0)
	v_cmp_eq_u32_e64 s[0:1], v1, v2
	v_mov_b32_e32 v4, 1
	ds_write_b32 v3, v1 offset:1024
	s_waitcnt lgkmcnt(0)
	s_barrier
	s_and_saveexec_b64 s[6:7], vcc
	s_cbranch_execz .LBB41_1
; %bb.3:                                ;   in Loop: Header=BB41_2 Depth=1
	ds_read_b32 v4, v3 offset:1028
	s_waitcnt lgkmcnt(0)
	v_cmp_eq_u32_e64 s[2:3], v2, v4
	v_cndmask_b32_e64 v4, 0, 1, s[2:3]
	s_branch .LBB41_1
.LBB41_4:
	s_add_u32 s0, s10, s4
	s_addc_u32 s1, s11, s5
	v_lshlrev_b32_e32 v0, 2, v0
	global_store_dword v0, v1, s[0:1]
	global_store_dword v0, v2, s[0:1] offset:1024
	s_endpgm
	.section	.rodata,"a",@progbits
	.p2align	6, 0x0
	.amdhsa_kernel _Z6kernelI10flag_tailsiLj256ELj2ELb0ELj100EEvPKT0_PS1_
		.amdhsa_group_segment_fixed_size 2048
		.amdhsa_private_segment_fixed_size 0
		.amdhsa_kernarg_size 16
		.amdhsa_user_sgpr_count 6
		.amdhsa_user_sgpr_private_segment_buffer 1
		.amdhsa_user_sgpr_dispatch_ptr 0
		.amdhsa_user_sgpr_queue_ptr 0
		.amdhsa_user_sgpr_kernarg_segment_ptr 1
		.amdhsa_user_sgpr_dispatch_id 0
		.amdhsa_user_sgpr_flat_scratch_init 0
		.amdhsa_user_sgpr_private_segment_size 0
		.amdhsa_uses_dynamic_stack 0
		.amdhsa_system_sgpr_private_segment_wavefront_offset 0
		.amdhsa_system_sgpr_workgroup_id_x 1
		.amdhsa_system_sgpr_workgroup_id_y 0
		.amdhsa_system_sgpr_workgroup_id_z 0
		.amdhsa_system_sgpr_workgroup_info 0
		.amdhsa_system_vgpr_workitem_id 0
		.amdhsa_next_free_vgpr 6
		.amdhsa_next_free_sgpr 12
		.amdhsa_reserve_vcc 1
		.amdhsa_reserve_flat_scratch 0
		.amdhsa_float_round_mode_32 0
		.amdhsa_float_round_mode_16_64 0
		.amdhsa_float_denorm_mode_32 3
		.amdhsa_float_denorm_mode_16_64 3
		.amdhsa_dx10_clamp 1
		.amdhsa_ieee_mode 1
		.amdhsa_fp16_overflow 0
		.amdhsa_exception_fp_ieee_invalid_op 0
		.amdhsa_exception_fp_denorm_src 0
		.amdhsa_exception_fp_ieee_div_zero 0
		.amdhsa_exception_fp_ieee_overflow 0
		.amdhsa_exception_fp_ieee_underflow 0
		.amdhsa_exception_fp_ieee_inexact 0
		.amdhsa_exception_int_div_zero 0
	.end_amdhsa_kernel
	.section	.text._Z6kernelI10flag_tailsiLj256ELj2ELb0ELj100EEvPKT0_PS1_,"axG",@progbits,_Z6kernelI10flag_tailsiLj256ELj2ELb0ELj100EEvPKT0_PS1_,comdat
.Lfunc_end41:
	.size	_Z6kernelI10flag_tailsiLj256ELj2ELb0ELj100EEvPKT0_PS1_, .Lfunc_end41-_Z6kernelI10flag_tailsiLj256ELj2ELb0ELj100EEvPKT0_PS1_
                                        ; -- End function
	.set _Z6kernelI10flag_tailsiLj256ELj2ELb0ELj100EEvPKT0_PS1_.num_vgpr, 6
	.set _Z6kernelI10flag_tailsiLj256ELj2ELb0ELj100EEvPKT0_PS1_.num_agpr, 0
	.set _Z6kernelI10flag_tailsiLj256ELj2ELb0ELj100EEvPKT0_PS1_.numbered_sgpr, 12
	.set _Z6kernelI10flag_tailsiLj256ELj2ELb0ELj100EEvPKT0_PS1_.num_named_barrier, 0
	.set _Z6kernelI10flag_tailsiLj256ELj2ELb0ELj100EEvPKT0_PS1_.private_seg_size, 0
	.set _Z6kernelI10flag_tailsiLj256ELj2ELb0ELj100EEvPKT0_PS1_.uses_vcc, 1
	.set _Z6kernelI10flag_tailsiLj256ELj2ELb0ELj100EEvPKT0_PS1_.uses_flat_scratch, 0
	.set _Z6kernelI10flag_tailsiLj256ELj2ELb0ELj100EEvPKT0_PS1_.has_dyn_sized_stack, 0
	.set _Z6kernelI10flag_tailsiLj256ELj2ELb0ELj100EEvPKT0_PS1_.has_recursion, 0
	.set _Z6kernelI10flag_tailsiLj256ELj2ELb0ELj100EEvPKT0_PS1_.has_indirect_call, 0
	.section	.AMDGPU.csdata,"",@progbits
; Kernel info:
; codeLenInByte = 216
; TotalNumSgprs: 16
; NumVgprs: 6
; ScratchSize: 0
; MemoryBound: 0
; FloatMode: 240
; IeeeMode: 1
; LDSByteSize: 2048 bytes/workgroup (compile time only)
; SGPRBlocks: 1
; VGPRBlocks: 1
; NumSGPRsForWavesPerEU: 16
; NumVGPRsForWavesPerEU: 6
; Occupancy: 10
; WaveLimiterHint : 1
; COMPUTE_PGM_RSRC2:SCRATCH_EN: 0
; COMPUTE_PGM_RSRC2:USER_SGPR: 6
; COMPUTE_PGM_RSRC2:TRAP_HANDLER: 0
; COMPUTE_PGM_RSRC2:TGID_X_EN: 1
; COMPUTE_PGM_RSRC2:TGID_Y_EN: 0
; COMPUTE_PGM_RSRC2:TGID_Z_EN: 0
; COMPUTE_PGM_RSRC2:TIDIG_COMP_CNT: 0
	.section	.text._Z6kernelI10flag_tailsiLj256ELj3ELb0ELj100EEvPKT0_PS1_,"axG",@progbits,_Z6kernelI10flag_tailsiLj256ELj3ELb0ELj100EEvPKT0_PS1_,comdat
	.protected	_Z6kernelI10flag_tailsiLj256ELj3ELb0ELj100EEvPKT0_PS1_ ; -- Begin function _Z6kernelI10flag_tailsiLj256ELj3ELb0ELj100EEvPKT0_PS1_
	.globl	_Z6kernelI10flag_tailsiLj256ELj3ELb0ELj100EEvPKT0_PS1_
	.p2align	8
	.type	_Z6kernelI10flag_tailsiLj256ELj3ELb0ELj100EEvPKT0_PS1_,@function
_Z6kernelI10flag_tailsiLj256ELj3ELb0ELj100EEvPKT0_PS1_: ; @_Z6kernelI10flag_tailsiLj256ELj3ELb0ELj100EEvPKT0_PS1_
; %bb.0:
	s_load_dwordx4 s[8:11], s[4:5], 0x0
	s_mul_i32 s0, s6, 0x300
	s_mov_b32 s1, 0
	s_lshl_b64 s[6:7], s[0:1], 2
	v_lshlrev_b32_e32 v4, 2, v0
	s_waitcnt lgkmcnt(0)
	s_add_u32 s0, s8, s6
	s_addc_u32 s1, s9, s7
	global_load_dword v1, v4, s[0:1]
	global_load_dword v2, v4, s[0:1] offset:1024
	global_load_dword v3, v4, s[0:1] offset:2048
	s_movk_i32 s0, 0xff
	v_cmp_ne_u32_e32 vcc, s0, v0
	s_movk_i32 s12, 0x64
	s_branch .LBB42_2
.LBB42_1:                               ;   in Loop: Header=BB42_2 Depth=1
	s_or_b64 exec, exec, s[8:9]
	v_cndmask_b32_e64 v6, 0, 1, s[2:3]
	v_cndmask_b32_e64 v7, 0, 1, s[0:1]
	s_add_i32 s12, s12, -1
	v_add_u32_sdwa v1, v1, v7 dst_sel:DWORD dst_unused:UNUSED_PAD src0_sel:DWORD src1_sel:BYTE_0
	v_add_u32_sdwa v2, v2, v6 dst_sel:DWORD dst_unused:UNUSED_PAD src0_sel:DWORD src1_sel:BYTE_0
	;; [unrolled: 1-line block ×3, first 2 shown]
	s_cmp_lg_u32 s12, 0
	s_barrier
	s_cbranch_scc0 .LBB42_4
.LBB42_2:                               ; =>This Inner Loop Header: Depth=1
	s_waitcnt vmcnt(1)
	v_cmp_eq_u32_e64 s[0:1], v1, v2
	s_waitcnt vmcnt(0)
	v_cmp_eq_u32_e64 s[2:3], v2, v3
	v_mov_b32_e32 v5, 1
	ds_write_b32 v4, v1 offset:1024
	s_waitcnt lgkmcnt(0)
	s_barrier
	s_and_saveexec_b64 s[8:9], vcc
	s_cbranch_execz .LBB42_1
; %bb.3:                                ;   in Loop: Header=BB42_2 Depth=1
	ds_read_b32 v5, v4 offset:1028
	s_waitcnt lgkmcnt(0)
	v_cmp_eq_u32_e64 s[4:5], v3, v5
	v_cndmask_b32_e64 v5, 0, 1, s[4:5]
	s_branch .LBB42_1
.LBB42_4:
	s_add_u32 s0, s10, s6
	s_addc_u32 s1, s11, s7
	v_lshlrev_b32_e32 v0, 2, v0
	global_store_dword v0, v1, s[0:1]
	global_store_dword v0, v2, s[0:1] offset:1024
	global_store_dword v0, v3, s[0:1] offset:2048
	s_endpgm
	.section	.rodata,"a",@progbits
	.p2align	6, 0x0
	.amdhsa_kernel _Z6kernelI10flag_tailsiLj256ELj3ELb0ELj100EEvPKT0_PS1_
		.amdhsa_group_segment_fixed_size 2048
		.amdhsa_private_segment_fixed_size 0
		.amdhsa_kernarg_size 16
		.amdhsa_user_sgpr_count 6
		.amdhsa_user_sgpr_private_segment_buffer 1
		.amdhsa_user_sgpr_dispatch_ptr 0
		.amdhsa_user_sgpr_queue_ptr 0
		.amdhsa_user_sgpr_kernarg_segment_ptr 1
		.amdhsa_user_sgpr_dispatch_id 0
		.amdhsa_user_sgpr_flat_scratch_init 0
		.amdhsa_user_sgpr_private_segment_size 0
		.amdhsa_uses_dynamic_stack 0
		.amdhsa_system_sgpr_private_segment_wavefront_offset 0
		.amdhsa_system_sgpr_workgroup_id_x 1
		.amdhsa_system_sgpr_workgroup_id_y 0
		.amdhsa_system_sgpr_workgroup_id_z 0
		.amdhsa_system_sgpr_workgroup_info 0
		.amdhsa_system_vgpr_workitem_id 0
		.amdhsa_next_free_vgpr 8
		.amdhsa_next_free_sgpr 13
		.amdhsa_reserve_vcc 1
		.amdhsa_reserve_flat_scratch 0
		.amdhsa_float_round_mode_32 0
		.amdhsa_float_round_mode_16_64 0
		.amdhsa_float_denorm_mode_32 3
		.amdhsa_float_denorm_mode_16_64 3
		.amdhsa_dx10_clamp 1
		.amdhsa_ieee_mode 1
		.amdhsa_fp16_overflow 0
		.amdhsa_exception_fp_ieee_invalid_op 0
		.amdhsa_exception_fp_denorm_src 0
		.amdhsa_exception_fp_ieee_div_zero 0
		.amdhsa_exception_fp_ieee_overflow 0
		.amdhsa_exception_fp_ieee_underflow 0
		.amdhsa_exception_fp_ieee_inexact 0
		.amdhsa_exception_int_div_zero 0
	.end_amdhsa_kernel
	.section	.text._Z6kernelI10flag_tailsiLj256ELj3ELb0ELj100EEvPKT0_PS1_,"axG",@progbits,_Z6kernelI10flag_tailsiLj256ELj3ELb0ELj100EEvPKT0_PS1_,comdat
.Lfunc_end42:
	.size	_Z6kernelI10flag_tailsiLj256ELj3ELb0ELj100EEvPKT0_PS1_, .Lfunc_end42-_Z6kernelI10flag_tailsiLj256ELj3ELb0ELj100EEvPKT0_PS1_
                                        ; -- End function
	.set _Z6kernelI10flag_tailsiLj256ELj3ELb0ELj100EEvPKT0_PS1_.num_vgpr, 8
	.set _Z6kernelI10flag_tailsiLj256ELj3ELb0ELj100EEvPKT0_PS1_.num_agpr, 0
	.set _Z6kernelI10flag_tailsiLj256ELj3ELb0ELj100EEvPKT0_PS1_.numbered_sgpr, 13
	.set _Z6kernelI10flag_tailsiLj256ELj3ELb0ELj100EEvPKT0_PS1_.num_named_barrier, 0
	.set _Z6kernelI10flag_tailsiLj256ELj3ELb0ELj100EEvPKT0_PS1_.private_seg_size, 0
	.set _Z6kernelI10flag_tailsiLj256ELj3ELb0ELj100EEvPKT0_PS1_.uses_vcc, 1
	.set _Z6kernelI10flag_tailsiLj256ELj3ELb0ELj100EEvPKT0_PS1_.uses_flat_scratch, 0
	.set _Z6kernelI10flag_tailsiLj256ELj3ELb0ELj100EEvPKT0_PS1_.has_dyn_sized_stack, 0
	.set _Z6kernelI10flag_tailsiLj256ELj3ELb0ELj100EEvPKT0_PS1_.has_recursion, 0
	.set _Z6kernelI10flag_tailsiLj256ELj3ELb0ELj100EEvPKT0_PS1_.has_indirect_call, 0
	.section	.AMDGPU.csdata,"",@progbits
; Kernel info:
; codeLenInByte = 264
; TotalNumSgprs: 17
; NumVgprs: 8
; ScratchSize: 0
; MemoryBound: 0
; FloatMode: 240
; IeeeMode: 1
; LDSByteSize: 2048 bytes/workgroup (compile time only)
; SGPRBlocks: 2
; VGPRBlocks: 1
; NumSGPRsForWavesPerEU: 17
; NumVGPRsForWavesPerEU: 8
; Occupancy: 10
; WaveLimiterHint : 1
; COMPUTE_PGM_RSRC2:SCRATCH_EN: 0
; COMPUTE_PGM_RSRC2:USER_SGPR: 6
; COMPUTE_PGM_RSRC2:TRAP_HANDLER: 0
; COMPUTE_PGM_RSRC2:TGID_X_EN: 1
; COMPUTE_PGM_RSRC2:TGID_Y_EN: 0
; COMPUTE_PGM_RSRC2:TGID_Z_EN: 0
; COMPUTE_PGM_RSRC2:TIDIG_COMP_CNT: 0
	.section	.text._Z6kernelI10flag_tailsiLj256ELj4ELb0ELj100EEvPKT0_PS1_,"axG",@progbits,_Z6kernelI10flag_tailsiLj256ELj4ELb0ELj100EEvPKT0_PS1_,comdat
	.protected	_Z6kernelI10flag_tailsiLj256ELj4ELb0ELj100EEvPKT0_PS1_ ; -- Begin function _Z6kernelI10flag_tailsiLj256ELj4ELb0ELj100EEvPKT0_PS1_
	.globl	_Z6kernelI10flag_tailsiLj256ELj4ELb0ELj100EEvPKT0_PS1_
	.p2align	8
	.type	_Z6kernelI10flag_tailsiLj256ELj4ELb0ELj100EEvPKT0_PS1_,@function
_Z6kernelI10flag_tailsiLj256ELj4ELb0ELj100EEvPKT0_PS1_: ; @_Z6kernelI10flag_tailsiLj256ELj4ELb0ELj100EEvPKT0_PS1_
; %bb.0:
	s_load_dwordx4 s[8:11], s[4:5], 0x0
	s_lshl_b32 s0, s6, 10
	s_mov_b32 s1, 0
	s_lshl_b64 s[12:13], s[0:1], 2
	v_lshlrev_b32_e32 v5, 2, v0
	s_waitcnt lgkmcnt(0)
	s_add_u32 s0, s8, s12
	s_addc_u32 s1, s9, s13
	global_load_dword v1, v5, s[0:1]
	global_load_dword v2, v5, s[0:1] offset:1024
	global_load_dword v3, v5, s[0:1] offset:2048
	;; [unrolled: 1-line block ×3, first 2 shown]
	s_movk_i32 s0, 0xff
	v_cmp_ne_u32_e32 vcc, s0, v0
	s_movk_i32 s14, 0x64
	s_branch .LBB43_2
.LBB43_1:                               ;   in Loop: Header=BB43_2 Depth=1
	s_or_b64 exec, exec, s[8:9]
	v_cndmask_b32_e64 v7, 0, 1, s[4:5]
	v_cndmask_b32_e64 v8, 0, 1, s[2:3]
	;; [unrolled: 1-line block ×3, first 2 shown]
	s_add_i32 s14, s14, -1
	v_add_u32_sdwa v1, v1, v9 dst_sel:DWORD dst_unused:UNUSED_PAD src0_sel:DWORD src1_sel:BYTE_0
	v_add_u32_sdwa v2, v2, v8 dst_sel:DWORD dst_unused:UNUSED_PAD src0_sel:DWORD src1_sel:BYTE_0
	;; [unrolled: 1-line block ×4, first 2 shown]
	s_cmp_lg_u32 s14, 0
	s_barrier
	s_cbranch_scc0 .LBB43_4
.LBB43_2:                               ; =>This Inner Loop Header: Depth=1
	s_waitcnt vmcnt(2)
	v_cmp_eq_u32_e64 s[0:1], v1, v2
	s_waitcnt vmcnt(1)
	v_cmp_eq_u32_e64 s[2:3], v2, v3
	;; [unrolled: 2-line block ×3, first 2 shown]
	v_mov_b32_e32 v6, 1
	ds_write_b32 v5, v1 offset:1024
	s_waitcnt lgkmcnt(0)
	s_barrier
	s_and_saveexec_b64 s[8:9], vcc
	s_cbranch_execz .LBB43_1
; %bb.3:                                ;   in Loop: Header=BB43_2 Depth=1
	ds_read_b32 v6, v5 offset:1028
	s_waitcnt lgkmcnt(0)
	v_cmp_eq_u32_e64 s[6:7], v4, v6
	v_cndmask_b32_e64 v6, 0, 1, s[6:7]
	s_branch .LBB43_1
.LBB43_4:
	s_add_u32 s0, s10, s12
	s_addc_u32 s1, s11, s13
	v_lshlrev_b32_e32 v0, 2, v0
	global_store_dword v0, v1, s[0:1]
	global_store_dword v0, v2, s[0:1] offset:1024
	global_store_dword v0, v3, s[0:1] offset:2048
	;; [unrolled: 1-line block ×3, first 2 shown]
	s_endpgm
	.section	.rodata,"a",@progbits
	.p2align	6, 0x0
	.amdhsa_kernel _Z6kernelI10flag_tailsiLj256ELj4ELb0ELj100EEvPKT0_PS1_
		.amdhsa_group_segment_fixed_size 2048
		.amdhsa_private_segment_fixed_size 0
		.amdhsa_kernarg_size 16
		.amdhsa_user_sgpr_count 6
		.amdhsa_user_sgpr_private_segment_buffer 1
		.amdhsa_user_sgpr_dispatch_ptr 0
		.amdhsa_user_sgpr_queue_ptr 0
		.amdhsa_user_sgpr_kernarg_segment_ptr 1
		.amdhsa_user_sgpr_dispatch_id 0
		.amdhsa_user_sgpr_flat_scratch_init 0
		.amdhsa_user_sgpr_private_segment_size 0
		.amdhsa_uses_dynamic_stack 0
		.amdhsa_system_sgpr_private_segment_wavefront_offset 0
		.amdhsa_system_sgpr_workgroup_id_x 1
		.amdhsa_system_sgpr_workgroup_id_y 0
		.amdhsa_system_sgpr_workgroup_id_z 0
		.amdhsa_system_sgpr_workgroup_info 0
		.amdhsa_system_vgpr_workitem_id 0
		.amdhsa_next_free_vgpr 10
		.amdhsa_next_free_sgpr 15
		.amdhsa_reserve_vcc 1
		.amdhsa_reserve_flat_scratch 0
		.amdhsa_float_round_mode_32 0
		.amdhsa_float_round_mode_16_64 0
		.amdhsa_float_denorm_mode_32 3
		.amdhsa_float_denorm_mode_16_64 3
		.amdhsa_dx10_clamp 1
		.amdhsa_ieee_mode 1
		.amdhsa_fp16_overflow 0
		.amdhsa_exception_fp_ieee_invalid_op 0
		.amdhsa_exception_fp_denorm_src 0
		.amdhsa_exception_fp_ieee_div_zero 0
		.amdhsa_exception_fp_ieee_overflow 0
		.amdhsa_exception_fp_ieee_underflow 0
		.amdhsa_exception_fp_ieee_inexact 0
		.amdhsa_exception_int_div_zero 0
	.end_amdhsa_kernel
	.section	.text._Z6kernelI10flag_tailsiLj256ELj4ELb0ELj100EEvPKT0_PS1_,"axG",@progbits,_Z6kernelI10flag_tailsiLj256ELj4ELb0ELj100EEvPKT0_PS1_,comdat
.Lfunc_end43:
	.size	_Z6kernelI10flag_tailsiLj256ELj4ELb0ELj100EEvPKT0_PS1_, .Lfunc_end43-_Z6kernelI10flag_tailsiLj256ELj4ELb0ELj100EEvPKT0_PS1_
                                        ; -- End function
	.set _Z6kernelI10flag_tailsiLj256ELj4ELb0ELj100EEvPKT0_PS1_.num_vgpr, 10
	.set _Z6kernelI10flag_tailsiLj256ELj4ELb0ELj100EEvPKT0_PS1_.num_agpr, 0
	.set _Z6kernelI10flag_tailsiLj256ELj4ELb0ELj100EEvPKT0_PS1_.numbered_sgpr, 15
	.set _Z6kernelI10flag_tailsiLj256ELj4ELb0ELj100EEvPKT0_PS1_.num_named_barrier, 0
	.set _Z6kernelI10flag_tailsiLj256ELj4ELb0ELj100EEvPKT0_PS1_.private_seg_size, 0
	.set _Z6kernelI10flag_tailsiLj256ELj4ELb0ELj100EEvPKT0_PS1_.uses_vcc, 1
	.set _Z6kernelI10flag_tailsiLj256ELj4ELb0ELj100EEvPKT0_PS1_.uses_flat_scratch, 0
	.set _Z6kernelI10flag_tailsiLj256ELj4ELb0ELj100EEvPKT0_PS1_.has_dyn_sized_stack, 0
	.set _Z6kernelI10flag_tailsiLj256ELj4ELb0ELj100EEvPKT0_PS1_.has_recursion, 0
	.set _Z6kernelI10flag_tailsiLj256ELj4ELb0ELj100EEvPKT0_PS1_.has_indirect_call, 0
	.section	.AMDGPU.csdata,"",@progbits
; Kernel info:
; codeLenInByte = 304
; TotalNumSgprs: 19
; NumVgprs: 10
; ScratchSize: 0
; MemoryBound: 0
; FloatMode: 240
; IeeeMode: 1
; LDSByteSize: 2048 bytes/workgroup (compile time only)
; SGPRBlocks: 2
; VGPRBlocks: 2
; NumSGPRsForWavesPerEU: 19
; NumVGPRsForWavesPerEU: 10
; Occupancy: 10
; WaveLimiterHint : 1
; COMPUTE_PGM_RSRC2:SCRATCH_EN: 0
; COMPUTE_PGM_RSRC2:USER_SGPR: 6
; COMPUTE_PGM_RSRC2:TRAP_HANDLER: 0
; COMPUTE_PGM_RSRC2:TGID_X_EN: 1
; COMPUTE_PGM_RSRC2:TGID_Y_EN: 0
; COMPUTE_PGM_RSRC2:TGID_Z_EN: 0
; COMPUTE_PGM_RSRC2:TIDIG_COMP_CNT: 0
	.section	.text._Z6kernelI10flag_tailsiLj256ELj8ELb0ELj100EEvPKT0_PS1_,"axG",@progbits,_Z6kernelI10flag_tailsiLj256ELj8ELb0ELj100EEvPKT0_PS1_,comdat
	.protected	_Z6kernelI10flag_tailsiLj256ELj8ELb0ELj100EEvPKT0_PS1_ ; -- Begin function _Z6kernelI10flag_tailsiLj256ELj8ELb0ELj100EEvPKT0_PS1_
	.globl	_Z6kernelI10flag_tailsiLj256ELj8ELb0ELj100EEvPKT0_PS1_
	.p2align	8
	.type	_Z6kernelI10flag_tailsiLj256ELj8ELb0ELj100EEvPKT0_PS1_,@function
_Z6kernelI10flag_tailsiLj256ELj8ELb0ELj100EEvPKT0_PS1_: ; @_Z6kernelI10flag_tailsiLj256ELj8ELb0ELj100EEvPKT0_PS1_
; %bb.0:
	s_load_dwordx4 s[0:3], s[4:5], 0x0
	s_lshl_b32 s4, s6, 11
	s_mov_b32 s5, 0
	s_lshl_b64 s[4:5], s[4:5], 2
	v_lshlrev_b32_e32 v5, 2, v0
	s_waitcnt lgkmcnt(0)
	s_add_u32 s0, s0, s4
	s_addc_u32 s1, s1, s5
	v_mov_b32_e32 v1, s1
	v_add_co_u32_e32 v2, vcc, s0, v5
	v_addc_co_u32_e32 v1, vcc, 0, v1, vcc
	v_add_co_u32_e32 v10, vcc, 0x1000, v2
	v_addc_co_u32_e32 v11, vcc, 0, v1, vcc
	global_load_dword v6, v5, s[0:1]
	global_load_dword v7, v5, s[0:1] offset:1024
	global_load_dword v8, v5, s[0:1] offset:2048
	;; [unrolled: 1-line block ×3, first 2 shown]
	global_load_dword v1, v[10:11], off
	global_load_dword v2, v[10:11], off offset:1024
	global_load_dword v3, v[10:11], off offset:2048
	;; [unrolled: 1-line block ×3, first 2 shown]
	s_movk_i32 s0, 0xff
	v_cmp_ne_u32_e32 vcc, s0, v0
	s_movk_i32 s8, 0x64
	s_branch .LBB44_2
.LBB44_1:                               ;   in Loop: Header=BB44_2 Depth=1
	s_or_b64 exec, exec, s[6:7]
	v_cmp_eq_u32_e64 s[0:1], v6, v7
	v_addc_co_u32_e64 v6, s[0:1], 0, v6, s[0:1]
	v_cmp_eq_u32_e64 s[0:1], v7, v8
	v_addc_co_u32_e64 v7, s[0:1], 0, v7, s[0:1]
	;; [unrolled: 2-line block ×6, first 2 shown]
	v_cmp_eq_u32_e64 s[0:1], v3, v4
	s_add_i32 s8, s8, -1
	v_addc_co_u32_e64 v3, s[0:1], 0, v3, s[0:1]
	v_add_u32_e32 v4, v10, v4
	s_cmp_lg_u32 s8, 0
	s_barrier
	s_cbranch_scc0 .LBB44_4
.LBB44_2:                               ; =>This Inner Loop Header: Depth=1
	v_mov_b32_e32 v10, 1
	s_waitcnt vmcnt(7)
	ds_write_b32 v5, v6 offset:1024
	s_waitcnt vmcnt(0) lgkmcnt(0)
	s_barrier
	s_and_saveexec_b64 s[6:7], vcc
	s_cbranch_execz .LBB44_1
; %bb.3:                                ;   in Loop: Header=BB44_2 Depth=1
	ds_read_b32 v10, v5 offset:1028
	s_waitcnt lgkmcnt(0)
	v_cmp_eq_u32_e64 s[0:1], v4, v10
	v_cndmask_b32_e64 v10, 0, 1, s[0:1]
	s_branch .LBB44_1
.LBB44_4:
	s_add_u32 s0, s2, s4
	s_addc_u32 s1, s3, s5
	v_lshlrev_b32_e32 v0, 2, v0
	v_mov_b32_e32 v5, s1
	v_add_co_u32_e32 v10, vcc, s0, v0
	v_addc_co_u32_e32 v11, vcc, 0, v5, vcc
	v_add_co_u32_e32 v5, vcc, 0x1000, v10
	global_store_dword v0, v6, s[0:1]
	global_store_dword v0, v7, s[0:1] offset:1024
	global_store_dword v0, v8, s[0:1] offset:2048
	;; [unrolled: 1-line block ×3, first 2 shown]
	v_addc_co_u32_e32 v6, vcc, 0, v11, vcc
	global_store_dword v[5:6], v1, off
	global_store_dword v[5:6], v2, off offset:1024
	global_store_dword v[5:6], v3, off offset:2048
	;; [unrolled: 1-line block ×3, first 2 shown]
	s_endpgm
	.section	.rodata,"a",@progbits
	.p2align	6, 0x0
	.amdhsa_kernel _Z6kernelI10flag_tailsiLj256ELj8ELb0ELj100EEvPKT0_PS1_
		.amdhsa_group_segment_fixed_size 2048
		.amdhsa_private_segment_fixed_size 0
		.amdhsa_kernarg_size 16
		.amdhsa_user_sgpr_count 6
		.amdhsa_user_sgpr_private_segment_buffer 1
		.amdhsa_user_sgpr_dispatch_ptr 0
		.amdhsa_user_sgpr_queue_ptr 0
		.amdhsa_user_sgpr_kernarg_segment_ptr 1
		.amdhsa_user_sgpr_dispatch_id 0
		.amdhsa_user_sgpr_flat_scratch_init 0
		.amdhsa_user_sgpr_private_segment_size 0
		.amdhsa_uses_dynamic_stack 0
		.amdhsa_system_sgpr_private_segment_wavefront_offset 0
		.amdhsa_system_sgpr_workgroup_id_x 1
		.amdhsa_system_sgpr_workgroup_id_y 0
		.amdhsa_system_sgpr_workgroup_id_z 0
		.amdhsa_system_sgpr_workgroup_info 0
		.amdhsa_system_vgpr_workitem_id 0
		.amdhsa_next_free_vgpr 12
		.amdhsa_next_free_sgpr 9
		.amdhsa_reserve_vcc 1
		.amdhsa_reserve_flat_scratch 0
		.amdhsa_float_round_mode_32 0
		.amdhsa_float_round_mode_16_64 0
		.amdhsa_float_denorm_mode_32 3
		.amdhsa_float_denorm_mode_16_64 3
		.amdhsa_dx10_clamp 1
		.amdhsa_ieee_mode 1
		.amdhsa_fp16_overflow 0
		.amdhsa_exception_fp_ieee_invalid_op 0
		.amdhsa_exception_fp_denorm_src 0
		.amdhsa_exception_fp_ieee_div_zero 0
		.amdhsa_exception_fp_ieee_overflow 0
		.amdhsa_exception_fp_ieee_underflow 0
		.amdhsa_exception_fp_ieee_inexact 0
		.amdhsa_exception_int_div_zero 0
	.end_amdhsa_kernel
	.section	.text._Z6kernelI10flag_tailsiLj256ELj8ELb0ELj100EEvPKT0_PS1_,"axG",@progbits,_Z6kernelI10flag_tailsiLj256ELj8ELb0ELj100EEvPKT0_PS1_,comdat
.Lfunc_end44:
	.size	_Z6kernelI10flag_tailsiLj256ELj8ELb0ELj100EEvPKT0_PS1_, .Lfunc_end44-_Z6kernelI10flag_tailsiLj256ELj8ELb0ELj100EEvPKT0_PS1_
                                        ; -- End function
	.set _Z6kernelI10flag_tailsiLj256ELj8ELb0ELj100EEvPKT0_PS1_.num_vgpr, 12
	.set _Z6kernelI10flag_tailsiLj256ELj8ELb0ELj100EEvPKT0_PS1_.num_agpr, 0
	.set _Z6kernelI10flag_tailsiLj256ELj8ELb0ELj100EEvPKT0_PS1_.numbered_sgpr, 9
	.set _Z6kernelI10flag_tailsiLj256ELj8ELb0ELj100EEvPKT0_PS1_.num_named_barrier, 0
	.set _Z6kernelI10flag_tailsiLj256ELj8ELb0ELj100EEvPKT0_PS1_.private_seg_size, 0
	.set _Z6kernelI10flag_tailsiLj256ELj8ELb0ELj100EEvPKT0_PS1_.uses_vcc, 1
	.set _Z6kernelI10flag_tailsiLj256ELj8ELb0ELj100EEvPKT0_PS1_.uses_flat_scratch, 0
	.set _Z6kernelI10flag_tailsiLj256ELj8ELb0ELj100EEvPKT0_PS1_.has_dyn_sized_stack, 0
	.set _Z6kernelI10flag_tailsiLj256ELj8ELb0ELj100EEvPKT0_PS1_.has_recursion, 0
	.set _Z6kernelI10flag_tailsiLj256ELj8ELb0ELj100EEvPKT0_PS1_.has_indirect_call, 0
	.section	.AMDGPU.csdata,"",@progbits
; Kernel info:
; codeLenInByte = 444
; TotalNumSgprs: 13
; NumVgprs: 12
; ScratchSize: 0
; MemoryBound: 0
; FloatMode: 240
; IeeeMode: 1
; LDSByteSize: 2048 bytes/workgroup (compile time only)
; SGPRBlocks: 1
; VGPRBlocks: 2
; NumSGPRsForWavesPerEU: 13
; NumVGPRsForWavesPerEU: 12
; Occupancy: 10
; WaveLimiterHint : 1
; COMPUTE_PGM_RSRC2:SCRATCH_EN: 0
; COMPUTE_PGM_RSRC2:USER_SGPR: 6
; COMPUTE_PGM_RSRC2:TRAP_HANDLER: 0
; COMPUTE_PGM_RSRC2:TGID_X_EN: 1
; COMPUTE_PGM_RSRC2:TGID_Y_EN: 0
; COMPUTE_PGM_RSRC2:TGID_Z_EN: 0
; COMPUTE_PGM_RSRC2:TIDIG_COMP_CNT: 0
	.section	.text._Z6kernelI10flag_tailsiLj256ELj1ELb1ELj100EEvPKT0_PS1_,"axG",@progbits,_Z6kernelI10flag_tailsiLj256ELj1ELb1ELj100EEvPKT0_PS1_,comdat
	.protected	_Z6kernelI10flag_tailsiLj256ELj1ELb1ELj100EEvPKT0_PS1_ ; -- Begin function _Z6kernelI10flag_tailsiLj256ELj1ELb1ELj100EEvPKT0_PS1_
	.globl	_Z6kernelI10flag_tailsiLj256ELj1ELb1ELj100EEvPKT0_PS1_
	.p2align	8
	.type	_Z6kernelI10flag_tailsiLj256ELj1ELb1ELj100EEvPKT0_PS1_,@function
_Z6kernelI10flag_tailsiLj256ELj1ELb1ELj100EEvPKT0_PS1_: ; @_Z6kernelI10flag_tailsiLj256ELj1ELb1ELj100EEvPKT0_PS1_
; %bb.0:
	s_load_dwordx4 s[0:3], s[4:5], 0x0
	s_lshl_b32 s4, s6, 8
	s_mov_b32 s5, 0
	s_lshl_b64 s[4:5], s[4:5], 2
	v_lshlrev_b32_e32 v2, 2, v0
	s_waitcnt lgkmcnt(0)
	s_add_u32 s0, s0, s4
	s_addc_u32 s1, s1, s5
	global_load_dword v1, v2, s[0:1]
	s_movk_i32 s0, 0xff
	v_cmp_ne_u32_e32 vcc, s0, v0
	s_movk_i32 s6, 0x64
	s_branch .LBB45_2
.LBB45_1:                               ;   in Loop: Header=BB45_2 Depth=1
	s_or_b64 exec, exec, s[0:1]
	s_waitcnt lgkmcnt(0)
	v_cmp_eq_u32_e64 s[0:1], v1, v3
	s_add_i32 s6, s6, -1
	v_addc_co_u32_e64 v1, s[0:1], 0, v1, s[0:1]
	s_cmp_lg_u32 s6, 0
	s_barrier
	s_cbranch_scc0 .LBB45_4
.LBB45_2:                               ; =>This Inner Loop Header: Depth=1
	v_mov_b32_e32 v3, 0x7b
	s_waitcnt vmcnt(0)
	ds_write_b32 v2, v1 offset:1024
	s_waitcnt lgkmcnt(0)
	s_barrier
	s_and_saveexec_b64 s[0:1], vcc
	s_cbranch_execz .LBB45_1
; %bb.3:                                ;   in Loop: Header=BB45_2 Depth=1
	ds_read_b32 v3, v2 offset:1028
	s_branch .LBB45_1
.LBB45_4:
	s_add_u32 s0, s2, s4
	s_addc_u32 s1, s3, s5
	v_lshlrev_b32_e32 v0, 2, v0
	global_store_dword v0, v1, s[0:1]
	s_endpgm
	.section	.rodata,"a",@progbits
	.p2align	6, 0x0
	.amdhsa_kernel _Z6kernelI10flag_tailsiLj256ELj1ELb1ELj100EEvPKT0_PS1_
		.amdhsa_group_segment_fixed_size 2048
		.amdhsa_private_segment_fixed_size 0
		.amdhsa_kernarg_size 16
		.amdhsa_user_sgpr_count 6
		.amdhsa_user_sgpr_private_segment_buffer 1
		.amdhsa_user_sgpr_dispatch_ptr 0
		.amdhsa_user_sgpr_queue_ptr 0
		.amdhsa_user_sgpr_kernarg_segment_ptr 1
		.amdhsa_user_sgpr_dispatch_id 0
		.amdhsa_user_sgpr_flat_scratch_init 0
		.amdhsa_user_sgpr_private_segment_size 0
		.amdhsa_uses_dynamic_stack 0
		.amdhsa_system_sgpr_private_segment_wavefront_offset 0
		.amdhsa_system_sgpr_workgroup_id_x 1
		.amdhsa_system_sgpr_workgroup_id_y 0
		.amdhsa_system_sgpr_workgroup_id_z 0
		.amdhsa_system_sgpr_workgroup_info 0
		.amdhsa_system_vgpr_workitem_id 0
		.amdhsa_next_free_vgpr 4
		.amdhsa_next_free_sgpr 7
		.amdhsa_reserve_vcc 1
		.amdhsa_reserve_flat_scratch 0
		.amdhsa_float_round_mode_32 0
		.amdhsa_float_round_mode_16_64 0
		.amdhsa_float_denorm_mode_32 3
		.amdhsa_float_denorm_mode_16_64 3
		.amdhsa_dx10_clamp 1
		.amdhsa_ieee_mode 1
		.amdhsa_fp16_overflow 0
		.amdhsa_exception_fp_ieee_invalid_op 0
		.amdhsa_exception_fp_denorm_src 0
		.amdhsa_exception_fp_ieee_div_zero 0
		.amdhsa_exception_fp_ieee_overflow 0
		.amdhsa_exception_fp_ieee_underflow 0
		.amdhsa_exception_fp_ieee_inexact 0
		.amdhsa_exception_int_div_zero 0
	.end_amdhsa_kernel
	.section	.text._Z6kernelI10flag_tailsiLj256ELj1ELb1ELj100EEvPKT0_PS1_,"axG",@progbits,_Z6kernelI10flag_tailsiLj256ELj1ELb1ELj100EEvPKT0_PS1_,comdat
.Lfunc_end45:
	.size	_Z6kernelI10flag_tailsiLj256ELj1ELb1ELj100EEvPKT0_PS1_, .Lfunc_end45-_Z6kernelI10flag_tailsiLj256ELj1ELb1ELj100EEvPKT0_PS1_
                                        ; -- End function
	.set _Z6kernelI10flag_tailsiLj256ELj1ELb1ELj100EEvPKT0_PS1_.num_vgpr, 4
	.set _Z6kernelI10flag_tailsiLj256ELj1ELb1ELj100EEvPKT0_PS1_.num_agpr, 0
	.set _Z6kernelI10flag_tailsiLj256ELj1ELb1ELj100EEvPKT0_PS1_.numbered_sgpr, 7
	.set _Z6kernelI10flag_tailsiLj256ELj1ELb1ELj100EEvPKT0_PS1_.num_named_barrier, 0
	.set _Z6kernelI10flag_tailsiLj256ELj1ELb1ELj100EEvPKT0_PS1_.private_seg_size, 0
	.set _Z6kernelI10flag_tailsiLj256ELj1ELb1ELj100EEvPKT0_PS1_.uses_vcc, 1
	.set _Z6kernelI10flag_tailsiLj256ELj1ELb1ELj100EEvPKT0_PS1_.uses_flat_scratch, 0
	.set _Z6kernelI10flag_tailsiLj256ELj1ELb1ELj100EEvPKT0_PS1_.has_dyn_sized_stack, 0
	.set _Z6kernelI10flag_tailsiLj256ELj1ELb1ELj100EEvPKT0_PS1_.has_recursion, 0
	.set _Z6kernelI10flag_tailsiLj256ELj1ELb1ELj100EEvPKT0_PS1_.has_indirect_call, 0
	.section	.AMDGPU.csdata,"",@progbits
; Kernel info:
; codeLenInByte = 172
; TotalNumSgprs: 11
; NumVgprs: 4
; ScratchSize: 0
; MemoryBound: 0
; FloatMode: 240
; IeeeMode: 1
; LDSByteSize: 2048 bytes/workgroup (compile time only)
; SGPRBlocks: 1
; VGPRBlocks: 0
; NumSGPRsForWavesPerEU: 11
; NumVGPRsForWavesPerEU: 4
; Occupancy: 10
; WaveLimiterHint : 0
; COMPUTE_PGM_RSRC2:SCRATCH_EN: 0
; COMPUTE_PGM_RSRC2:USER_SGPR: 6
; COMPUTE_PGM_RSRC2:TRAP_HANDLER: 0
; COMPUTE_PGM_RSRC2:TGID_X_EN: 1
; COMPUTE_PGM_RSRC2:TGID_Y_EN: 0
; COMPUTE_PGM_RSRC2:TGID_Z_EN: 0
; COMPUTE_PGM_RSRC2:TIDIG_COMP_CNT: 0
	.section	.text._Z6kernelI10flag_tailsiLj256ELj2ELb1ELj100EEvPKT0_PS1_,"axG",@progbits,_Z6kernelI10flag_tailsiLj256ELj2ELb1ELj100EEvPKT0_PS1_,comdat
	.protected	_Z6kernelI10flag_tailsiLj256ELj2ELb1ELj100EEvPKT0_PS1_ ; -- Begin function _Z6kernelI10flag_tailsiLj256ELj2ELb1ELj100EEvPKT0_PS1_
	.globl	_Z6kernelI10flag_tailsiLj256ELj2ELb1ELj100EEvPKT0_PS1_
	.p2align	8
	.type	_Z6kernelI10flag_tailsiLj256ELj2ELb1ELj100EEvPKT0_PS1_,@function
_Z6kernelI10flag_tailsiLj256ELj2ELb1ELj100EEvPKT0_PS1_: ; @_Z6kernelI10flag_tailsiLj256ELj2ELb1ELj100EEvPKT0_PS1_
; %bb.0:
	s_load_dwordx4 s[0:3], s[4:5], 0x0
	s_lshl_b32 s4, s6, 9
	s_mov_b32 s5, 0
	s_lshl_b64 s[4:5], s[4:5], 2
	v_lshlrev_b32_e32 v3, 2, v0
	s_waitcnt lgkmcnt(0)
	s_add_u32 s0, s0, s4
	s_addc_u32 s1, s1, s5
	global_load_dword v1, v3, s[0:1]
	global_load_dword v2, v3, s[0:1] offset:1024
	s_movk_i32 s0, 0xff
	v_cmp_ne_u32_e32 vcc, s0, v0
	s_movk_i32 s6, 0x64
	s_branch .LBB46_2
.LBB46_1:                               ;   in Loop: Header=BB46_2 Depth=1
	s_or_b64 exec, exec, s[0:1]
	v_cmp_eq_u32_e64 s[0:1], v1, v2
	v_addc_co_u32_e64 v1, s[0:1], 0, v1, s[0:1]
	s_waitcnt lgkmcnt(0)
	v_cmp_eq_u32_e64 s[0:1], v2, v4
	s_add_i32 s6, s6, -1
	v_addc_co_u32_e64 v2, s[0:1], 0, v2, s[0:1]
	s_cmp_lg_u32 s6, 0
	s_barrier
	s_cbranch_scc0 .LBB46_4
.LBB46_2:                               ; =>This Inner Loop Header: Depth=1
	v_mov_b32_e32 v4, 0x7b
	s_waitcnt vmcnt(1)
	ds_write_b32 v3, v1 offset:1024
	s_waitcnt vmcnt(0) lgkmcnt(0)
	s_barrier
	s_and_saveexec_b64 s[0:1], vcc
	s_cbranch_execz .LBB46_1
; %bb.3:                                ;   in Loop: Header=BB46_2 Depth=1
	ds_read_b32 v4, v3 offset:1028
	s_branch .LBB46_1
.LBB46_4:
	s_add_u32 s0, s2, s4
	s_addc_u32 s1, s3, s5
	v_lshlrev_b32_e32 v0, 2, v0
	global_store_dword v0, v1, s[0:1]
	global_store_dword v0, v2, s[0:1] offset:1024
	s_endpgm
	.section	.rodata,"a",@progbits
	.p2align	6, 0x0
	.amdhsa_kernel _Z6kernelI10flag_tailsiLj256ELj2ELb1ELj100EEvPKT0_PS1_
		.amdhsa_group_segment_fixed_size 2048
		.amdhsa_private_segment_fixed_size 0
		.amdhsa_kernarg_size 16
		.amdhsa_user_sgpr_count 6
		.amdhsa_user_sgpr_private_segment_buffer 1
		.amdhsa_user_sgpr_dispatch_ptr 0
		.amdhsa_user_sgpr_queue_ptr 0
		.amdhsa_user_sgpr_kernarg_segment_ptr 1
		.amdhsa_user_sgpr_dispatch_id 0
		.amdhsa_user_sgpr_flat_scratch_init 0
		.amdhsa_user_sgpr_private_segment_size 0
		.amdhsa_uses_dynamic_stack 0
		.amdhsa_system_sgpr_private_segment_wavefront_offset 0
		.amdhsa_system_sgpr_workgroup_id_x 1
		.amdhsa_system_sgpr_workgroup_id_y 0
		.amdhsa_system_sgpr_workgroup_id_z 0
		.amdhsa_system_sgpr_workgroup_info 0
		.amdhsa_system_vgpr_workitem_id 0
		.amdhsa_next_free_vgpr 5
		.amdhsa_next_free_sgpr 7
		.amdhsa_reserve_vcc 1
		.amdhsa_reserve_flat_scratch 0
		.amdhsa_float_round_mode_32 0
		.amdhsa_float_round_mode_16_64 0
		.amdhsa_float_denorm_mode_32 3
		.amdhsa_float_denorm_mode_16_64 3
		.amdhsa_dx10_clamp 1
		.amdhsa_ieee_mode 1
		.amdhsa_fp16_overflow 0
		.amdhsa_exception_fp_ieee_invalid_op 0
		.amdhsa_exception_fp_denorm_src 0
		.amdhsa_exception_fp_ieee_div_zero 0
		.amdhsa_exception_fp_ieee_overflow 0
		.amdhsa_exception_fp_ieee_underflow 0
		.amdhsa_exception_fp_ieee_inexact 0
		.amdhsa_exception_int_div_zero 0
	.end_amdhsa_kernel
	.section	.text._Z6kernelI10flag_tailsiLj256ELj2ELb1ELj100EEvPKT0_PS1_,"axG",@progbits,_Z6kernelI10flag_tailsiLj256ELj2ELb1ELj100EEvPKT0_PS1_,comdat
.Lfunc_end46:
	.size	_Z6kernelI10flag_tailsiLj256ELj2ELb1ELj100EEvPKT0_PS1_, .Lfunc_end46-_Z6kernelI10flag_tailsiLj256ELj2ELb1ELj100EEvPKT0_PS1_
                                        ; -- End function
	.set _Z6kernelI10flag_tailsiLj256ELj2ELb1ELj100EEvPKT0_PS1_.num_vgpr, 5
	.set _Z6kernelI10flag_tailsiLj256ELj2ELb1ELj100EEvPKT0_PS1_.num_agpr, 0
	.set _Z6kernelI10flag_tailsiLj256ELj2ELb1ELj100EEvPKT0_PS1_.numbered_sgpr, 7
	.set _Z6kernelI10flag_tailsiLj256ELj2ELb1ELj100EEvPKT0_PS1_.num_named_barrier, 0
	.set _Z6kernelI10flag_tailsiLj256ELj2ELb1ELj100EEvPKT0_PS1_.private_seg_size, 0
	.set _Z6kernelI10flag_tailsiLj256ELj2ELb1ELj100EEvPKT0_PS1_.uses_vcc, 1
	.set _Z6kernelI10flag_tailsiLj256ELj2ELb1ELj100EEvPKT0_PS1_.uses_flat_scratch, 0
	.set _Z6kernelI10flag_tailsiLj256ELj2ELb1ELj100EEvPKT0_PS1_.has_dyn_sized_stack, 0
	.set _Z6kernelI10flag_tailsiLj256ELj2ELb1ELj100EEvPKT0_PS1_.has_recursion, 0
	.set _Z6kernelI10flag_tailsiLj256ELj2ELb1ELj100EEvPKT0_PS1_.has_indirect_call, 0
	.section	.AMDGPU.csdata,"",@progbits
; Kernel info:
; codeLenInByte = 204
; TotalNumSgprs: 11
; NumVgprs: 5
; ScratchSize: 0
; MemoryBound: 0
; FloatMode: 240
; IeeeMode: 1
; LDSByteSize: 2048 bytes/workgroup (compile time only)
; SGPRBlocks: 1
; VGPRBlocks: 1
; NumSGPRsForWavesPerEU: 11
; NumVGPRsForWavesPerEU: 5
; Occupancy: 10
; WaveLimiterHint : 1
; COMPUTE_PGM_RSRC2:SCRATCH_EN: 0
; COMPUTE_PGM_RSRC2:USER_SGPR: 6
; COMPUTE_PGM_RSRC2:TRAP_HANDLER: 0
; COMPUTE_PGM_RSRC2:TGID_X_EN: 1
; COMPUTE_PGM_RSRC2:TGID_Y_EN: 0
; COMPUTE_PGM_RSRC2:TGID_Z_EN: 0
; COMPUTE_PGM_RSRC2:TIDIG_COMP_CNT: 0
	.section	.text._Z6kernelI10flag_tailsiLj256ELj3ELb1ELj100EEvPKT0_PS1_,"axG",@progbits,_Z6kernelI10flag_tailsiLj256ELj3ELb1ELj100EEvPKT0_PS1_,comdat
	.protected	_Z6kernelI10flag_tailsiLj256ELj3ELb1ELj100EEvPKT0_PS1_ ; -- Begin function _Z6kernelI10flag_tailsiLj256ELj3ELb1ELj100EEvPKT0_PS1_
	.globl	_Z6kernelI10flag_tailsiLj256ELj3ELb1ELj100EEvPKT0_PS1_
	.p2align	8
	.type	_Z6kernelI10flag_tailsiLj256ELj3ELb1ELj100EEvPKT0_PS1_,@function
_Z6kernelI10flag_tailsiLj256ELj3ELb1ELj100EEvPKT0_PS1_: ; @_Z6kernelI10flag_tailsiLj256ELj3ELb1ELj100EEvPKT0_PS1_
; %bb.0:
	s_load_dwordx4 s[0:3], s[4:5], 0x0
	s_mul_i32 s4, s6, 0x300
	s_mov_b32 s5, 0
	s_lshl_b64 s[4:5], s[4:5], 2
	v_lshlrev_b32_e32 v4, 2, v0
	s_waitcnt lgkmcnt(0)
	s_add_u32 s0, s0, s4
	s_addc_u32 s1, s1, s5
	global_load_dword v1, v4, s[0:1]
	global_load_dword v2, v4, s[0:1] offset:1024
	global_load_dword v3, v4, s[0:1] offset:2048
	s_movk_i32 s0, 0xff
	v_cmp_ne_u32_e32 vcc, s0, v0
	s_movk_i32 s6, 0x64
	s_branch .LBB47_2
.LBB47_1:                               ;   in Loop: Header=BB47_2 Depth=1
	s_or_b64 exec, exec, s[0:1]
	v_cmp_eq_u32_e64 s[0:1], v1, v2
	v_addc_co_u32_e64 v1, s[0:1], 0, v1, s[0:1]
	v_cmp_eq_u32_e64 s[0:1], v2, v3
	v_addc_co_u32_e64 v2, s[0:1], 0, v2, s[0:1]
	s_waitcnt lgkmcnt(0)
	v_cmp_eq_u32_e64 s[0:1], v3, v5
	s_add_i32 s6, s6, -1
	v_addc_co_u32_e64 v3, s[0:1], 0, v3, s[0:1]
	s_cmp_lg_u32 s6, 0
	s_barrier
	s_cbranch_scc0 .LBB47_4
.LBB47_2:                               ; =>This Inner Loop Header: Depth=1
	v_mov_b32_e32 v5, 0x7b
	s_waitcnt vmcnt(2)
	ds_write_b32 v4, v1 offset:1024
	s_waitcnt vmcnt(0) lgkmcnt(0)
	s_barrier
	s_and_saveexec_b64 s[0:1], vcc
	s_cbranch_execz .LBB47_1
; %bb.3:                                ;   in Loop: Header=BB47_2 Depth=1
	ds_read_b32 v5, v4 offset:1028
	s_branch .LBB47_1
.LBB47_4:
	s_add_u32 s0, s2, s4
	s_addc_u32 s1, s3, s5
	v_lshlrev_b32_e32 v0, 2, v0
	global_store_dword v0, v1, s[0:1]
	global_store_dword v0, v2, s[0:1] offset:1024
	global_store_dword v0, v3, s[0:1] offset:2048
	s_endpgm
	.section	.rodata,"a",@progbits
	.p2align	6, 0x0
	.amdhsa_kernel _Z6kernelI10flag_tailsiLj256ELj3ELb1ELj100EEvPKT0_PS1_
		.amdhsa_group_segment_fixed_size 2048
		.amdhsa_private_segment_fixed_size 0
		.amdhsa_kernarg_size 16
		.amdhsa_user_sgpr_count 6
		.amdhsa_user_sgpr_private_segment_buffer 1
		.amdhsa_user_sgpr_dispatch_ptr 0
		.amdhsa_user_sgpr_queue_ptr 0
		.amdhsa_user_sgpr_kernarg_segment_ptr 1
		.amdhsa_user_sgpr_dispatch_id 0
		.amdhsa_user_sgpr_flat_scratch_init 0
		.amdhsa_user_sgpr_private_segment_size 0
		.amdhsa_uses_dynamic_stack 0
		.amdhsa_system_sgpr_private_segment_wavefront_offset 0
		.amdhsa_system_sgpr_workgroup_id_x 1
		.amdhsa_system_sgpr_workgroup_id_y 0
		.amdhsa_system_sgpr_workgroup_id_z 0
		.amdhsa_system_sgpr_workgroup_info 0
		.amdhsa_system_vgpr_workitem_id 0
		.amdhsa_next_free_vgpr 6
		.amdhsa_next_free_sgpr 7
		.amdhsa_reserve_vcc 1
		.amdhsa_reserve_flat_scratch 0
		.amdhsa_float_round_mode_32 0
		.amdhsa_float_round_mode_16_64 0
		.amdhsa_float_denorm_mode_32 3
		.amdhsa_float_denorm_mode_16_64 3
		.amdhsa_dx10_clamp 1
		.amdhsa_ieee_mode 1
		.amdhsa_fp16_overflow 0
		.amdhsa_exception_fp_ieee_invalid_op 0
		.amdhsa_exception_fp_denorm_src 0
		.amdhsa_exception_fp_ieee_div_zero 0
		.amdhsa_exception_fp_ieee_overflow 0
		.amdhsa_exception_fp_ieee_underflow 0
		.amdhsa_exception_fp_ieee_inexact 0
		.amdhsa_exception_int_div_zero 0
	.end_amdhsa_kernel
	.section	.text._Z6kernelI10flag_tailsiLj256ELj3ELb1ELj100EEvPKT0_PS1_,"axG",@progbits,_Z6kernelI10flag_tailsiLj256ELj3ELb1ELj100EEvPKT0_PS1_,comdat
.Lfunc_end47:
	.size	_Z6kernelI10flag_tailsiLj256ELj3ELb1ELj100EEvPKT0_PS1_, .Lfunc_end47-_Z6kernelI10flag_tailsiLj256ELj3ELb1ELj100EEvPKT0_PS1_
                                        ; -- End function
	.set _Z6kernelI10flag_tailsiLj256ELj3ELb1ELj100EEvPKT0_PS1_.num_vgpr, 6
	.set _Z6kernelI10flag_tailsiLj256ELj3ELb1ELj100EEvPKT0_PS1_.num_agpr, 0
	.set _Z6kernelI10flag_tailsiLj256ELj3ELb1ELj100EEvPKT0_PS1_.numbered_sgpr, 7
	.set _Z6kernelI10flag_tailsiLj256ELj3ELb1ELj100EEvPKT0_PS1_.num_named_barrier, 0
	.set _Z6kernelI10flag_tailsiLj256ELj3ELb1ELj100EEvPKT0_PS1_.private_seg_size, 0
	.set _Z6kernelI10flag_tailsiLj256ELj3ELb1ELj100EEvPKT0_PS1_.uses_vcc, 1
	.set _Z6kernelI10flag_tailsiLj256ELj3ELb1ELj100EEvPKT0_PS1_.uses_flat_scratch, 0
	.set _Z6kernelI10flag_tailsiLj256ELj3ELb1ELj100EEvPKT0_PS1_.has_dyn_sized_stack, 0
	.set _Z6kernelI10flag_tailsiLj256ELj3ELb1ELj100EEvPKT0_PS1_.has_recursion, 0
	.set _Z6kernelI10flag_tailsiLj256ELj3ELb1ELj100EEvPKT0_PS1_.has_indirect_call, 0
	.section	.AMDGPU.csdata,"",@progbits
; Kernel info:
; codeLenInByte = 240
; TotalNumSgprs: 11
; NumVgprs: 6
; ScratchSize: 0
; MemoryBound: 0
; FloatMode: 240
; IeeeMode: 1
; LDSByteSize: 2048 bytes/workgroup (compile time only)
; SGPRBlocks: 1
; VGPRBlocks: 1
; NumSGPRsForWavesPerEU: 11
; NumVGPRsForWavesPerEU: 6
; Occupancy: 10
; WaveLimiterHint : 1
; COMPUTE_PGM_RSRC2:SCRATCH_EN: 0
; COMPUTE_PGM_RSRC2:USER_SGPR: 6
; COMPUTE_PGM_RSRC2:TRAP_HANDLER: 0
; COMPUTE_PGM_RSRC2:TGID_X_EN: 1
; COMPUTE_PGM_RSRC2:TGID_Y_EN: 0
; COMPUTE_PGM_RSRC2:TGID_Z_EN: 0
; COMPUTE_PGM_RSRC2:TIDIG_COMP_CNT: 0
	.section	.text._Z6kernelI10flag_tailsiLj256ELj4ELb1ELj100EEvPKT0_PS1_,"axG",@progbits,_Z6kernelI10flag_tailsiLj256ELj4ELb1ELj100EEvPKT0_PS1_,comdat
	.protected	_Z6kernelI10flag_tailsiLj256ELj4ELb1ELj100EEvPKT0_PS1_ ; -- Begin function _Z6kernelI10flag_tailsiLj256ELj4ELb1ELj100EEvPKT0_PS1_
	.globl	_Z6kernelI10flag_tailsiLj256ELj4ELb1ELj100EEvPKT0_PS1_
	.p2align	8
	.type	_Z6kernelI10flag_tailsiLj256ELj4ELb1ELj100EEvPKT0_PS1_,@function
_Z6kernelI10flag_tailsiLj256ELj4ELb1ELj100EEvPKT0_PS1_: ; @_Z6kernelI10flag_tailsiLj256ELj4ELb1ELj100EEvPKT0_PS1_
; %bb.0:
	s_load_dwordx4 s[0:3], s[4:5], 0x0
	s_lshl_b32 s4, s6, 10
	s_mov_b32 s5, 0
	s_lshl_b64 s[4:5], s[4:5], 2
	v_lshlrev_b32_e32 v5, 2, v0
	s_waitcnt lgkmcnt(0)
	s_add_u32 s0, s0, s4
	s_addc_u32 s1, s1, s5
	global_load_dword v1, v5, s[0:1]
	global_load_dword v2, v5, s[0:1] offset:1024
	global_load_dword v3, v5, s[0:1] offset:2048
	;; [unrolled: 1-line block ×3, first 2 shown]
	s_movk_i32 s0, 0xff
	v_cmp_ne_u32_e32 vcc, s0, v0
	s_movk_i32 s6, 0x64
	s_branch .LBB48_2
.LBB48_1:                               ;   in Loop: Header=BB48_2 Depth=1
	s_or_b64 exec, exec, s[0:1]
	v_cmp_eq_u32_e64 s[0:1], v1, v2
	v_addc_co_u32_e64 v1, s[0:1], 0, v1, s[0:1]
	v_cmp_eq_u32_e64 s[0:1], v2, v3
	v_addc_co_u32_e64 v2, s[0:1], 0, v2, s[0:1]
	;; [unrolled: 2-line block ×3, first 2 shown]
	s_waitcnt lgkmcnt(0)
	v_cmp_eq_u32_e64 s[0:1], v4, v6
	s_add_i32 s6, s6, -1
	v_addc_co_u32_e64 v4, s[0:1], 0, v4, s[0:1]
	s_cmp_lg_u32 s6, 0
	s_barrier
	s_cbranch_scc0 .LBB48_4
.LBB48_2:                               ; =>This Inner Loop Header: Depth=1
	v_mov_b32_e32 v6, 0x7b
	s_waitcnt vmcnt(3)
	ds_write_b32 v5, v1 offset:1024
	s_waitcnt vmcnt(0) lgkmcnt(0)
	s_barrier
	s_and_saveexec_b64 s[0:1], vcc
	s_cbranch_execz .LBB48_1
; %bb.3:                                ;   in Loop: Header=BB48_2 Depth=1
	ds_read_b32 v6, v5 offset:1028
	s_branch .LBB48_1
.LBB48_4:
	s_add_u32 s0, s2, s4
	s_addc_u32 s1, s3, s5
	v_lshlrev_b32_e32 v0, 2, v0
	global_store_dword v0, v1, s[0:1]
	global_store_dword v0, v2, s[0:1] offset:1024
	global_store_dword v0, v3, s[0:1] offset:2048
	;; [unrolled: 1-line block ×3, first 2 shown]
	s_endpgm
	.section	.rodata,"a",@progbits
	.p2align	6, 0x0
	.amdhsa_kernel _Z6kernelI10flag_tailsiLj256ELj4ELb1ELj100EEvPKT0_PS1_
		.amdhsa_group_segment_fixed_size 2048
		.amdhsa_private_segment_fixed_size 0
		.amdhsa_kernarg_size 16
		.amdhsa_user_sgpr_count 6
		.amdhsa_user_sgpr_private_segment_buffer 1
		.amdhsa_user_sgpr_dispatch_ptr 0
		.amdhsa_user_sgpr_queue_ptr 0
		.amdhsa_user_sgpr_kernarg_segment_ptr 1
		.amdhsa_user_sgpr_dispatch_id 0
		.amdhsa_user_sgpr_flat_scratch_init 0
		.amdhsa_user_sgpr_private_segment_size 0
		.amdhsa_uses_dynamic_stack 0
		.amdhsa_system_sgpr_private_segment_wavefront_offset 0
		.amdhsa_system_sgpr_workgroup_id_x 1
		.amdhsa_system_sgpr_workgroup_id_y 0
		.amdhsa_system_sgpr_workgroup_id_z 0
		.amdhsa_system_sgpr_workgroup_info 0
		.amdhsa_system_vgpr_workitem_id 0
		.amdhsa_next_free_vgpr 7
		.amdhsa_next_free_sgpr 7
		.amdhsa_reserve_vcc 1
		.amdhsa_reserve_flat_scratch 0
		.amdhsa_float_round_mode_32 0
		.amdhsa_float_round_mode_16_64 0
		.amdhsa_float_denorm_mode_32 3
		.amdhsa_float_denorm_mode_16_64 3
		.amdhsa_dx10_clamp 1
		.amdhsa_ieee_mode 1
		.amdhsa_fp16_overflow 0
		.amdhsa_exception_fp_ieee_invalid_op 0
		.amdhsa_exception_fp_denorm_src 0
		.amdhsa_exception_fp_ieee_div_zero 0
		.amdhsa_exception_fp_ieee_overflow 0
		.amdhsa_exception_fp_ieee_underflow 0
		.amdhsa_exception_fp_ieee_inexact 0
		.amdhsa_exception_int_div_zero 0
	.end_amdhsa_kernel
	.section	.text._Z6kernelI10flag_tailsiLj256ELj4ELb1ELj100EEvPKT0_PS1_,"axG",@progbits,_Z6kernelI10flag_tailsiLj256ELj4ELb1ELj100EEvPKT0_PS1_,comdat
.Lfunc_end48:
	.size	_Z6kernelI10flag_tailsiLj256ELj4ELb1ELj100EEvPKT0_PS1_, .Lfunc_end48-_Z6kernelI10flag_tailsiLj256ELj4ELb1ELj100EEvPKT0_PS1_
                                        ; -- End function
	.set _Z6kernelI10flag_tailsiLj256ELj4ELb1ELj100EEvPKT0_PS1_.num_vgpr, 7
	.set _Z6kernelI10flag_tailsiLj256ELj4ELb1ELj100EEvPKT0_PS1_.num_agpr, 0
	.set _Z6kernelI10flag_tailsiLj256ELj4ELb1ELj100EEvPKT0_PS1_.numbered_sgpr, 7
	.set _Z6kernelI10flag_tailsiLj256ELj4ELb1ELj100EEvPKT0_PS1_.num_named_barrier, 0
	.set _Z6kernelI10flag_tailsiLj256ELj4ELb1ELj100EEvPKT0_PS1_.private_seg_size, 0
	.set _Z6kernelI10flag_tailsiLj256ELj4ELb1ELj100EEvPKT0_PS1_.uses_vcc, 1
	.set _Z6kernelI10flag_tailsiLj256ELj4ELb1ELj100EEvPKT0_PS1_.uses_flat_scratch, 0
	.set _Z6kernelI10flag_tailsiLj256ELj4ELb1ELj100EEvPKT0_PS1_.has_dyn_sized_stack, 0
	.set _Z6kernelI10flag_tailsiLj256ELj4ELb1ELj100EEvPKT0_PS1_.has_recursion, 0
	.set _Z6kernelI10flag_tailsiLj256ELj4ELb1ELj100EEvPKT0_PS1_.has_indirect_call, 0
	.section	.AMDGPU.csdata,"",@progbits
; Kernel info:
; codeLenInByte = 268
; TotalNumSgprs: 11
; NumVgprs: 7
; ScratchSize: 0
; MemoryBound: 0
; FloatMode: 240
; IeeeMode: 1
; LDSByteSize: 2048 bytes/workgroup (compile time only)
; SGPRBlocks: 1
; VGPRBlocks: 1
; NumSGPRsForWavesPerEU: 11
; NumVGPRsForWavesPerEU: 7
; Occupancy: 10
; WaveLimiterHint : 1
; COMPUTE_PGM_RSRC2:SCRATCH_EN: 0
; COMPUTE_PGM_RSRC2:USER_SGPR: 6
; COMPUTE_PGM_RSRC2:TRAP_HANDLER: 0
; COMPUTE_PGM_RSRC2:TGID_X_EN: 1
; COMPUTE_PGM_RSRC2:TGID_Y_EN: 0
; COMPUTE_PGM_RSRC2:TGID_Z_EN: 0
; COMPUTE_PGM_RSRC2:TIDIG_COMP_CNT: 0
	.section	.text._Z6kernelI10flag_tailsiLj256ELj8ELb1ELj100EEvPKT0_PS1_,"axG",@progbits,_Z6kernelI10flag_tailsiLj256ELj8ELb1ELj100EEvPKT0_PS1_,comdat
	.protected	_Z6kernelI10flag_tailsiLj256ELj8ELb1ELj100EEvPKT0_PS1_ ; -- Begin function _Z6kernelI10flag_tailsiLj256ELj8ELb1ELj100EEvPKT0_PS1_
	.globl	_Z6kernelI10flag_tailsiLj256ELj8ELb1ELj100EEvPKT0_PS1_
	.p2align	8
	.type	_Z6kernelI10flag_tailsiLj256ELj8ELb1ELj100EEvPKT0_PS1_,@function
_Z6kernelI10flag_tailsiLj256ELj8ELb1ELj100EEvPKT0_PS1_: ; @_Z6kernelI10flag_tailsiLj256ELj8ELb1ELj100EEvPKT0_PS1_
; %bb.0:
	s_load_dwordx4 s[0:3], s[4:5], 0x0
	s_lshl_b32 s4, s6, 11
	s_mov_b32 s5, 0
	s_lshl_b64 s[4:5], s[4:5], 2
	v_lshlrev_b32_e32 v5, 2, v0
	s_waitcnt lgkmcnt(0)
	s_add_u32 s0, s0, s4
	s_addc_u32 s1, s1, s5
	v_mov_b32_e32 v1, s1
	v_add_co_u32_e32 v2, vcc, s0, v5
	v_addc_co_u32_e32 v1, vcc, 0, v1, vcc
	v_add_co_u32_e32 v10, vcc, 0x1000, v2
	v_addc_co_u32_e32 v11, vcc, 0, v1, vcc
	global_load_dword v6, v5, s[0:1]
	global_load_dword v7, v5, s[0:1] offset:1024
	global_load_dword v8, v5, s[0:1] offset:2048
	;; [unrolled: 1-line block ×3, first 2 shown]
	global_load_dword v1, v[10:11], off
	global_load_dword v2, v[10:11], off offset:1024
	global_load_dword v3, v[10:11], off offset:2048
	global_load_dword v4, v[10:11], off offset:3072
	s_movk_i32 s0, 0xff
	v_cmp_ne_u32_e32 vcc, s0, v0
	s_movk_i32 s6, 0x64
	s_branch .LBB49_2
.LBB49_1:                               ;   in Loop: Header=BB49_2 Depth=1
	s_or_b64 exec, exec, s[0:1]
	v_cmp_eq_u32_e64 s[0:1], v6, v7
	v_addc_co_u32_e64 v6, s[0:1], 0, v6, s[0:1]
	v_cmp_eq_u32_e64 s[0:1], v7, v8
	v_addc_co_u32_e64 v7, s[0:1], 0, v7, s[0:1]
	;; [unrolled: 2-line block ×7, first 2 shown]
	s_waitcnt lgkmcnt(0)
	v_cmp_eq_u32_e64 s[0:1], v4, v10
	s_add_i32 s6, s6, -1
	v_addc_co_u32_e64 v4, s[0:1], 0, v4, s[0:1]
	s_cmp_lg_u32 s6, 0
	s_barrier
	s_cbranch_scc0 .LBB49_4
.LBB49_2:                               ; =>This Inner Loop Header: Depth=1
	v_mov_b32_e32 v10, 0x7b
	s_waitcnt vmcnt(7)
	ds_write_b32 v5, v6 offset:1024
	s_waitcnt vmcnt(0) lgkmcnt(0)
	s_barrier
	s_and_saveexec_b64 s[0:1], vcc
	s_cbranch_execz .LBB49_1
; %bb.3:                                ;   in Loop: Header=BB49_2 Depth=1
	ds_read_b32 v10, v5 offset:1028
	s_branch .LBB49_1
.LBB49_4:
	s_add_u32 s0, s2, s4
	s_addc_u32 s1, s3, s5
	v_lshlrev_b32_e32 v0, 2, v0
	v_mov_b32_e32 v5, s1
	v_add_co_u32_e32 v10, vcc, s0, v0
	v_addc_co_u32_e32 v11, vcc, 0, v5, vcc
	v_add_co_u32_e32 v5, vcc, 0x1000, v10
	global_store_dword v0, v6, s[0:1]
	global_store_dword v0, v7, s[0:1] offset:1024
	global_store_dword v0, v8, s[0:1] offset:2048
	;; [unrolled: 1-line block ×3, first 2 shown]
	v_addc_co_u32_e32 v6, vcc, 0, v11, vcc
	global_store_dword v[5:6], v1, off
	global_store_dword v[5:6], v2, off offset:1024
	global_store_dword v[5:6], v3, off offset:2048
	;; [unrolled: 1-line block ×3, first 2 shown]
	s_endpgm
	.section	.rodata,"a",@progbits
	.p2align	6, 0x0
	.amdhsa_kernel _Z6kernelI10flag_tailsiLj256ELj8ELb1ELj100EEvPKT0_PS1_
		.amdhsa_group_segment_fixed_size 2048
		.amdhsa_private_segment_fixed_size 0
		.amdhsa_kernarg_size 16
		.amdhsa_user_sgpr_count 6
		.amdhsa_user_sgpr_private_segment_buffer 1
		.amdhsa_user_sgpr_dispatch_ptr 0
		.amdhsa_user_sgpr_queue_ptr 0
		.amdhsa_user_sgpr_kernarg_segment_ptr 1
		.amdhsa_user_sgpr_dispatch_id 0
		.amdhsa_user_sgpr_flat_scratch_init 0
		.amdhsa_user_sgpr_private_segment_size 0
		.amdhsa_uses_dynamic_stack 0
		.amdhsa_system_sgpr_private_segment_wavefront_offset 0
		.amdhsa_system_sgpr_workgroup_id_x 1
		.amdhsa_system_sgpr_workgroup_id_y 0
		.amdhsa_system_sgpr_workgroup_id_z 0
		.amdhsa_system_sgpr_workgroup_info 0
		.amdhsa_system_vgpr_workitem_id 0
		.amdhsa_next_free_vgpr 12
		.amdhsa_next_free_sgpr 7
		.amdhsa_reserve_vcc 1
		.amdhsa_reserve_flat_scratch 0
		.amdhsa_float_round_mode_32 0
		.amdhsa_float_round_mode_16_64 0
		.amdhsa_float_denorm_mode_32 3
		.amdhsa_float_denorm_mode_16_64 3
		.amdhsa_dx10_clamp 1
		.amdhsa_ieee_mode 1
		.amdhsa_fp16_overflow 0
		.amdhsa_exception_fp_ieee_invalid_op 0
		.amdhsa_exception_fp_denorm_src 0
		.amdhsa_exception_fp_ieee_div_zero 0
		.amdhsa_exception_fp_ieee_overflow 0
		.amdhsa_exception_fp_ieee_underflow 0
		.amdhsa_exception_fp_ieee_inexact 0
		.amdhsa_exception_int_div_zero 0
	.end_amdhsa_kernel
	.section	.text._Z6kernelI10flag_tailsiLj256ELj8ELb1ELj100EEvPKT0_PS1_,"axG",@progbits,_Z6kernelI10flag_tailsiLj256ELj8ELb1ELj100EEvPKT0_PS1_,comdat
.Lfunc_end49:
	.size	_Z6kernelI10flag_tailsiLj256ELj8ELb1ELj100EEvPKT0_PS1_, .Lfunc_end49-_Z6kernelI10flag_tailsiLj256ELj8ELb1ELj100EEvPKT0_PS1_
                                        ; -- End function
	.set _Z6kernelI10flag_tailsiLj256ELj8ELb1ELj100EEvPKT0_PS1_.num_vgpr, 12
	.set _Z6kernelI10flag_tailsiLj256ELj8ELb1ELj100EEvPKT0_PS1_.num_agpr, 0
	.set _Z6kernelI10flag_tailsiLj256ELj8ELb1ELj100EEvPKT0_PS1_.numbered_sgpr, 7
	.set _Z6kernelI10flag_tailsiLj256ELj8ELb1ELj100EEvPKT0_PS1_.num_named_barrier, 0
	.set _Z6kernelI10flag_tailsiLj256ELj8ELb1ELj100EEvPKT0_PS1_.private_seg_size, 0
	.set _Z6kernelI10flag_tailsiLj256ELj8ELb1ELj100EEvPKT0_PS1_.uses_vcc, 1
	.set _Z6kernelI10flag_tailsiLj256ELj8ELb1ELj100EEvPKT0_PS1_.uses_flat_scratch, 0
	.set _Z6kernelI10flag_tailsiLj256ELj8ELb1ELj100EEvPKT0_PS1_.has_dyn_sized_stack, 0
	.set _Z6kernelI10flag_tailsiLj256ELj8ELb1ELj100EEvPKT0_PS1_.has_recursion, 0
	.set _Z6kernelI10flag_tailsiLj256ELj8ELb1ELj100EEvPKT0_PS1_.has_indirect_call, 0
	.section	.AMDGPU.csdata,"",@progbits
; Kernel info:
; codeLenInByte = 444
; TotalNumSgprs: 11
; NumVgprs: 12
; ScratchSize: 0
; MemoryBound: 0
; FloatMode: 240
; IeeeMode: 1
; LDSByteSize: 2048 bytes/workgroup (compile time only)
; SGPRBlocks: 1
; VGPRBlocks: 2
; NumSGPRsForWavesPerEU: 11
; NumVGPRsForWavesPerEU: 12
; Occupancy: 10
; WaveLimiterHint : 1
; COMPUTE_PGM_RSRC2:SCRATCH_EN: 0
; COMPUTE_PGM_RSRC2:USER_SGPR: 6
; COMPUTE_PGM_RSRC2:TRAP_HANDLER: 0
; COMPUTE_PGM_RSRC2:TGID_X_EN: 1
; COMPUTE_PGM_RSRC2:TGID_Y_EN: 0
; COMPUTE_PGM_RSRC2:TGID_Z_EN: 0
; COMPUTE_PGM_RSRC2:TIDIG_COMP_CNT: 0
	.section	.text._Z6kernelI10flag_tailsaLj256ELj1ELb0ELj100EEvPKT0_PS1_,"axG",@progbits,_Z6kernelI10flag_tailsaLj256ELj1ELb0ELj100EEvPKT0_PS1_,comdat
	.protected	_Z6kernelI10flag_tailsaLj256ELj1ELb0ELj100EEvPKT0_PS1_ ; -- Begin function _Z6kernelI10flag_tailsaLj256ELj1ELb0ELj100EEvPKT0_PS1_
	.globl	_Z6kernelI10flag_tailsaLj256ELj1ELb0ELj100EEvPKT0_PS1_
	.p2align	8
	.type	_Z6kernelI10flag_tailsaLj256ELj1ELb0ELj100EEvPKT0_PS1_,@function
_Z6kernelI10flag_tailsaLj256ELj1ELb0ELj100EEvPKT0_PS1_: ; @_Z6kernelI10flag_tailsaLj256ELj1ELb0ELj100EEvPKT0_PS1_
; %bb.0:
	s_load_dwordx4 s[0:3], s[4:5], 0x0
	s_lshl_b32 s4, s6, 8
	s_movk_i32 s5, 0x64
	s_waitcnt lgkmcnt(0)
	s_add_u32 s0, s0, s4
	s_addc_u32 s1, s1, 0
	global_load_ubyte v1, v0, s[0:1]
	s_movk_i32 s0, 0xff
	v_cmp_ne_u32_e32 vcc, s0, v0
	s_branch .LBB50_2
.LBB50_1:                               ;   in Loop: Header=BB50_2 Depth=1
	s_or_b64 exec, exec, s[0:1]
	s_add_i32 s5, s5, -1
	v_add_u16_e32 v1, v2, v1
	s_cmp_lg_u32 s5, 0
	s_barrier
	s_cbranch_scc0 .LBB50_4
.LBB50_2:                               ; =>This Inner Loop Header: Depth=1
	v_mov_b32_e32 v2, 1
	s_waitcnt vmcnt(0)
	ds_write_b8 v0, v1 offset:256
	s_waitcnt lgkmcnt(0)
	s_barrier
	s_and_saveexec_b64 s[0:1], vcc
	s_cbranch_execz .LBB50_1
; %bb.3:                                ;   in Loop: Header=BB50_2 Depth=1
	ds_read_u8 v2, v0 offset:257
	s_waitcnt lgkmcnt(0)
	v_cmp_eq_u16_sdwa s[6:7], v1, v2 src0_sel:BYTE_0 src1_sel:DWORD
	v_cndmask_b32_e64 v2, 0, 1, s[6:7]
	s_branch .LBB50_1
.LBB50_4:
	s_add_u32 s0, s2, s4
	s_addc_u32 s1, s3, 0
	v_mov_b32_e32 v3, s1
	v_add_co_u32_e32 v2, vcc, s0, v0
	v_addc_co_u32_e32 v3, vcc, 0, v3, vcc
	global_store_byte v[2:3], v1, off
	s_endpgm
	.section	.rodata,"a",@progbits
	.p2align	6, 0x0
	.amdhsa_kernel _Z6kernelI10flag_tailsaLj256ELj1ELb0ELj100EEvPKT0_PS1_
		.amdhsa_group_segment_fixed_size 512
		.amdhsa_private_segment_fixed_size 0
		.amdhsa_kernarg_size 16
		.amdhsa_user_sgpr_count 6
		.amdhsa_user_sgpr_private_segment_buffer 1
		.amdhsa_user_sgpr_dispatch_ptr 0
		.amdhsa_user_sgpr_queue_ptr 0
		.amdhsa_user_sgpr_kernarg_segment_ptr 1
		.amdhsa_user_sgpr_dispatch_id 0
		.amdhsa_user_sgpr_flat_scratch_init 0
		.amdhsa_user_sgpr_private_segment_size 0
		.amdhsa_uses_dynamic_stack 0
		.amdhsa_system_sgpr_private_segment_wavefront_offset 0
		.amdhsa_system_sgpr_workgroup_id_x 1
		.amdhsa_system_sgpr_workgroup_id_y 0
		.amdhsa_system_sgpr_workgroup_id_z 0
		.amdhsa_system_sgpr_workgroup_info 0
		.amdhsa_system_vgpr_workitem_id 0
		.amdhsa_next_free_vgpr 4
		.amdhsa_next_free_sgpr 8
		.amdhsa_reserve_vcc 1
		.amdhsa_reserve_flat_scratch 0
		.amdhsa_float_round_mode_32 0
		.amdhsa_float_round_mode_16_64 0
		.amdhsa_float_denorm_mode_32 3
		.amdhsa_float_denorm_mode_16_64 3
		.amdhsa_dx10_clamp 1
		.amdhsa_ieee_mode 1
		.amdhsa_fp16_overflow 0
		.amdhsa_exception_fp_ieee_invalid_op 0
		.amdhsa_exception_fp_denorm_src 0
		.amdhsa_exception_fp_ieee_div_zero 0
		.amdhsa_exception_fp_ieee_overflow 0
		.amdhsa_exception_fp_ieee_underflow 0
		.amdhsa_exception_fp_ieee_inexact 0
		.amdhsa_exception_int_div_zero 0
	.end_amdhsa_kernel
	.section	.text._Z6kernelI10flag_tailsaLj256ELj1ELb0ELj100EEvPKT0_PS1_,"axG",@progbits,_Z6kernelI10flag_tailsaLj256ELj1ELb0ELj100EEvPKT0_PS1_,comdat
.Lfunc_end50:
	.size	_Z6kernelI10flag_tailsaLj256ELj1ELb0ELj100EEvPKT0_PS1_, .Lfunc_end50-_Z6kernelI10flag_tailsaLj256ELj1ELb0ELj100EEvPKT0_PS1_
                                        ; -- End function
	.set _Z6kernelI10flag_tailsaLj256ELj1ELb0ELj100EEvPKT0_PS1_.num_vgpr, 4
	.set _Z6kernelI10flag_tailsaLj256ELj1ELb0ELj100EEvPKT0_PS1_.num_agpr, 0
	.set _Z6kernelI10flag_tailsaLj256ELj1ELb0ELj100EEvPKT0_PS1_.numbered_sgpr, 8
	.set _Z6kernelI10flag_tailsaLj256ELj1ELb0ELj100EEvPKT0_PS1_.num_named_barrier, 0
	.set _Z6kernelI10flag_tailsaLj256ELj1ELb0ELj100EEvPKT0_PS1_.private_seg_size, 0
	.set _Z6kernelI10flag_tailsaLj256ELj1ELb0ELj100EEvPKT0_PS1_.uses_vcc, 1
	.set _Z6kernelI10flag_tailsaLj256ELj1ELb0ELj100EEvPKT0_PS1_.uses_flat_scratch, 0
	.set _Z6kernelI10flag_tailsaLj256ELj1ELb0ELj100EEvPKT0_PS1_.has_dyn_sized_stack, 0
	.set _Z6kernelI10flag_tailsaLj256ELj1ELb0ELj100EEvPKT0_PS1_.has_recursion, 0
	.set _Z6kernelI10flag_tailsaLj256ELj1ELb0ELj100EEvPKT0_PS1_.has_indirect_call, 0
	.section	.AMDGPU.csdata,"",@progbits
; Kernel info:
; codeLenInByte = 168
; TotalNumSgprs: 12
; NumVgprs: 4
; ScratchSize: 0
; MemoryBound: 0
; FloatMode: 240
; IeeeMode: 1
; LDSByteSize: 512 bytes/workgroup (compile time only)
; SGPRBlocks: 1
; VGPRBlocks: 0
; NumSGPRsForWavesPerEU: 12
; NumVGPRsForWavesPerEU: 4
; Occupancy: 10
; WaveLimiterHint : 0
; COMPUTE_PGM_RSRC2:SCRATCH_EN: 0
; COMPUTE_PGM_RSRC2:USER_SGPR: 6
; COMPUTE_PGM_RSRC2:TRAP_HANDLER: 0
; COMPUTE_PGM_RSRC2:TGID_X_EN: 1
; COMPUTE_PGM_RSRC2:TGID_Y_EN: 0
; COMPUTE_PGM_RSRC2:TGID_Z_EN: 0
; COMPUTE_PGM_RSRC2:TIDIG_COMP_CNT: 0
	.section	.text._Z6kernelI10flag_tailsaLj256ELj2ELb0ELj100EEvPKT0_PS1_,"axG",@progbits,_Z6kernelI10flag_tailsaLj256ELj2ELb0ELj100EEvPKT0_PS1_,comdat
	.protected	_Z6kernelI10flag_tailsaLj256ELj2ELb0ELj100EEvPKT0_PS1_ ; -- Begin function _Z6kernelI10flag_tailsaLj256ELj2ELb0ELj100EEvPKT0_PS1_
	.globl	_Z6kernelI10flag_tailsaLj256ELj2ELb0ELj100EEvPKT0_PS1_
	.p2align	8
	.type	_Z6kernelI10flag_tailsaLj256ELj2ELb0ELj100EEvPKT0_PS1_,@function
_Z6kernelI10flag_tailsaLj256ELj2ELb0ELj100EEvPKT0_PS1_: ; @_Z6kernelI10flag_tailsaLj256ELj2ELb0ELj100EEvPKT0_PS1_
; %bb.0:
	s_load_dwordx4 s[0:3], s[4:5], 0x0
	s_lshl_b32 s6, s6, 9
	s_movk_i32 s7, 0x64
	s_waitcnt lgkmcnt(0)
	s_add_u32 s0, s0, s6
	s_addc_u32 s1, s1, 0
	global_load_ubyte v1, v0, s[0:1] offset:256
	global_load_ubyte v2, v0, s[0:1]
	s_mov_b32 s0, 0xc0c0004
	s_movk_i32 s1, 0xff
	v_cmp_ne_u32_e32 vcc, s1, v0
	s_waitcnt vmcnt(0)
	v_perm_b32 v1, v2, v1, s0
	s_branch .LBB51_2
.LBB51_1:                               ;   in Loop: Header=BB51_2 Depth=1
	s_or_b64 exec, exec, s[4:5]
	v_cndmask_b32_e64 v3, 0, 1, s[0:1]
	v_add_u16_e32 v3, v3, v1
	v_add_u16_sdwa v1, v2, v1 dst_sel:BYTE_1 dst_unused:UNUSED_PAD src0_sel:DWORD src1_sel:BYTE_1
	v_or_b32_sdwa v1, v3, v1 dst_sel:DWORD dst_unused:UNUSED_PAD src0_sel:BYTE_0 src1_sel:DWORD
	s_add_i32 s7, s7, -1
	v_and_b32_e32 v1, 0xffff, v1
	s_cmp_lg_u32 s7, 0
	s_barrier
	s_cbranch_scc0 .LBB51_4
.LBB51_2:                               ; =>This Inner Loop Header: Depth=1
	v_cmp_eq_u16_sdwa s[0:1], v1, v1 src0_sel:BYTE_0 src1_sel:BYTE_1
	v_mov_b32_e32 v2, 1
	ds_write_b8 v0, v1 offset:256
	s_waitcnt lgkmcnt(0)
	s_barrier
	s_and_saveexec_b64 s[4:5], vcc
	s_cbranch_execz .LBB51_1
; %bb.3:                                ;   in Loop: Header=BB51_2 Depth=1
	ds_read_u8 v2, v0 offset:257
	s_waitcnt lgkmcnt(0)
	v_cmp_eq_u16_sdwa s[8:9], v1, v2 src0_sel:BYTE_1 src1_sel:DWORD
	v_cndmask_b32_e64 v2, 0, 1, s[8:9]
	s_branch .LBB51_1
.LBB51_4:
	s_add_u32 s0, s2, s6
	s_addc_u32 s1, s3, 0
	v_mov_b32_e32 v3, s1
	v_add_co_u32_e32 v2, vcc, s0, v0
	v_addc_co_u32_e32 v3, vcc, 0, v3, vcc
	v_lshrrev_b16_e32 v0, 8, v1
	global_store_byte v[2:3], v1, off
	global_store_byte v[2:3], v0, off offset:256
	s_endpgm
	.section	.rodata,"a",@progbits
	.p2align	6, 0x0
	.amdhsa_kernel _Z6kernelI10flag_tailsaLj256ELj2ELb0ELj100EEvPKT0_PS1_
		.amdhsa_group_segment_fixed_size 512
		.amdhsa_private_segment_fixed_size 0
		.amdhsa_kernarg_size 16
		.amdhsa_user_sgpr_count 6
		.amdhsa_user_sgpr_private_segment_buffer 1
		.amdhsa_user_sgpr_dispatch_ptr 0
		.amdhsa_user_sgpr_queue_ptr 0
		.amdhsa_user_sgpr_kernarg_segment_ptr 1
		.amdhsa_user_sgpr_dispatch_id 0
		.amdhsa_user_sgpr_flat_scratch_init 0
		.amdhsa_user_sgpr_private_segment_size 0
		.amdhsa_uses_dynamic_stack 0
		.amdhsa_system_sgpr_private_segment_wavefront_offset 0
		.amdhsa_system_sgpr_workgroup_id_x 1
		.amdhsa_system_sgpr_workgroup_id_y 0
		.amdhsa_system_sgpr_workgroup_id_z 0
		.amdhsa_system_sgpr_workgroup_info 0
		.amdhsa_system_vgpr_workitem_id 0
		.amdhsa_next_free_vgpr 4
		.amdhsa_next_free_sgpr 10
		.amdhsa_reserve_vcc 1
		.amdhsa_reserve_flat_scratch 0
		.amdhsa_float_round_mode_32 0
		.amdhsa_float_round_mode_16_64 0
		.amdhsa_float_denorm_mode_32 3
		.amdhsa_float_denorm_mode_16_64 3
		.amdhsa_dx10_clamp 1
		.amdhsa_ieee_mode 1
		.amdhsa_fp16_overflow 0
		.amdhsa_exception_fp_ieee_invalid_op 0
		.amdhsa_exception_fp_denorm_src 0
		.amdhsa_exception_fp_ieee_div_zero 0
		.amdhsa_exception_fp_ieee_overflow 0
		.amdhsa_exception_fp_ieee_underflow 0
		.amdhsa_exception_fp_ieee_inexact 0
		.amdhsa_exception_int_div_zero 0
	.end_amdhsa_kernel
	.section	.text._Z6kernelI10flag_tailsaLj256ELj2ELb0ELj100EEvPKT0_PS1_,"axG",@progbits,_Z6kernelI10flag_tailsaLj256ELj2ELb0ELj100EEvPKT0_PS1_,comdat
.Lfunc_end51:
	.size	_Z6kernelI10flag_tailsaLj256ELj2ELb0ELj100EEvPKT0_PS1_, .Lfunc_end51-_Z6kernelI10flag_tailsaLj256ELj2ELb0ELj100EEvPKT0_PS1_
                                        ; -- End function
	.set _Z6kernelI10flag_tailsaLj256ELj2ELb0ELj100EEvPKT0_PS1_.num_vgpr, 4
	.set _Z6kernelI10flag_tailsaLj256ELj2ELb0ELj100EEvPKT0_PS1_.num_agpr, 0
	.set _Z6kernelI10flag_tailsaLj256ELj2ELb0ELj100EEvPKT0_PS1_.numbered_sgpr, 10
	.set _Z6kernelI10flag_tailsaLj256ELj2ELb0ELj100EEvPKT0_PS1_.num_named_barrier, 0
	.set _Z6kernelI10flag_tailsaLj256ELj2ELb0ELj100EEvPKT0_PS1_.private_seg_size, 0
	.set _Z6kernelI10flag_tailsaLj256ELj2ELb0ELj100EEvPKT0_PS1_.uses_vcc, 1
	.set _Z6kernelI10flag_tailsaLj256ELj2ELb0ELj100EEvPKT0_PS1_.uses_flat_scratch, 0
	.set _Z6kernelI10flag_tailsaLj256ELj2ELb0ELj100EEvPKT0_PS1_.has_dyn_sized_stack, 0
	.set _Z6kernelI10flag_tailsaLj256ELj2ELb0ELj100EEvPKT0_PS1_.has_recursion, 0
	.set _Z6kernelI10flag_tailsaLj256ELj2ELb0ELj100EEvPKT0_PS1_.has_indirect_call, 0
	.section	.AMDGPU.csdata,"",@progbits
; Kernel info:
; codeLenInByte = 244
; TotalNumSgprs: 14
; NumVgprs: 4
; ScratchSize: 0
; MemoryBound: 0
; FloatMode: 240
; IeeeMode: 1
; LDSByteSize: 512 bytes/workgroup (compile time only)
; SGPRBlocks: 1
; VGPRBlocks: 0
; NumSGPRsForWavesPerEU: 14
; NumVGPRsForWavesPerEU: 4
; Occupancy: 10
; WaveLimiterHint : 1
; COMPUTE_PGM_RSRC2:SCRATCH_EN: 0
; COMPUTE_PGM_RSRC2:USER_SGPR: 6
; COMPUTE_PGM_RSRC2:TRAP_HANDLER: 0
; COMPUTE_PGM_RSRC2:TGID_X_EN: 1
; COMPUTE_PGM_RSRC2:TGID_Y_EN: 0
; COMPUTE_PGM_RSRC2:TGID_Z_EN: 0
; COMPUTE_PGM_RSRC2:TIDIG_COMP_CNT: 0
	.section	.text._Z6kernelI10flag_tailsaLj256ELj3ELb0ELj100EEvPKT0_PS1_,"axG",@progbits,_Z6kernelI10flag_tailsaLj256ELj3ELb0ELj100EEvPKT0_PS1_,comdat
	.protected	_Z6kernelI10flag_tailsaLj256ELj3ELb0ELj100EEvPKT0_PS1_ ; -- Begin function _Z6kernelI10flag_tailsaLj256ELj3ELb0ELj100EEvPKT0_PS1_
	.globl	_Z6kernelI10flag_tailsaLj256ELj3ELb0ELj100EEvPKT0_PS1_
	.p2align	8
	.type	_Z6kernelI10flag_tailsaLj256ELj3ELb0ELj100EEvPKT0_PS1_,@function
_Z6kernelI10flag_tailsaLj256ELj3ELb0ELj100EEvPKT0_PS1_: ; @_Z6kernelI10flag_tailsaLj256ELj3ELb0ELj100EEvPKT0_PS1_
; %bb.0:
	s_load_dwordx4 s[0:3], s[4:5], 0x0
	s_mul_i32 s10, s6, 0x300
	s_movk_i32 s11, 0xff
	s_movk_i32 s12, 0x64
	v_cmp_ne_u32_e32 vcc, s11, v0
	s_waitcnt lgkmcnt(0)
	s_add_u32 s0, s0, s10
	s_addc_u32 s1, s1, 0
	global_load_ubyte v1, v0, s[0:1] offset:256
	global_load_ubyte v2, v0, s[0:1] offset:512
	global_load_ubyte v3, v0, s[0:1]
	s_mov_b32 s0, 0xc0c0004
	s_mov_b32 s13, 0xc0c0104
	s_waitcnt vmcnt(0)
	v_perm_b32 v1, v3, v1, s0
	v_lshl_or_b32 v1, v2, 16, v1
	s_branch .LBB52_2
.LBB52_1:                               ;   in Loop: Header=BB52_2 Depth=1
	s_or_b64 exec, exec, s[8:9]
	v_cndmask_b32_e64 v4, 0, 1, s[6:7]
	v_cndmask_b32_e64 v5, 0, 1, s[4:5]
	v_add_u16_sdwa v2, v3, v1 dst_sel:DWORD dst_unused:UNUSED_PAD src0_sel:DWORD src1_sel:WORD_1
	v_and_b32_e32 v3, 0xff, v2
	v_add_u16_sdwa v4, v4, v1 dst_sel:BYTE_1 dst_unused:UNUSED_PAD src0_sel:DWORD src1_sel:BYTE_1
	v_add_u16_e32 v1, v5, v1
	v_perm_b32 v1, v1, v4, s13
	v_lshlrev_b32_e32 v3, 16, v3
	s_add_i32 s12, s12, -1
	v_or_b32_e32 v1, v1, v3
	s_cmp_lg_u32 s12, 0
	s_barrier
	s_cbranch_scc0 .LBB52_4
.LBB52_2:                               ; =>This Inner Loop Header: Depth=1
	v_lshrrev_b32_e32 v3, 8, v1
	v_and_b32_sdwa v2, v1, s11 dst_sel:DWORD dst_unused:UNUSED_PAD src0_sel:WORD_1 src1_sel:DWORD
	v_cmp_eq_u16_sdwa s[4:5], v1, v3 src0_sel:BYTE_0 src1_sel:BYTE_0
	v_cmp_eq_u16_sdwa s[6:7], v3, v2 src0_sel:BYTE_0 src1_sel:DWORD
	v_mov_b32_e32 v3, 1
	ds_write_b8 v0, v1 offset:256
	s_waitcnt lgkmcnt(0)
	s_barrier
	s_and_saveexec_b64 s[8:9], vcc
	s_cbranch_execz .LBB52_1
; %bb.3:                                ;   in Loop: Header=BB52_2 Depth=1
	ds_read_u8 v3, v0 offset:257
	s_waitcnt lgkmcnt(0)
	v_cmp_eq_u16_e64 s[0:1], v2, v3
	v_cndmask_b32_e64 v3, 0, 1, s[0:1]
	s_branch .LBB52_1
.LBB52_4:
	s_add_u32 s0, s2, s10
	s_addc_u32 s1, s3, 0
	v_mov_b32_e32 v4, s1
	v_add_co_u32_e32 v3, vcc, s0, v0
	v_addc_co_u32_e32 v4, vcc, 0, v4, vcc
	v_lshrrev_b32_e32 v0, 8, v1
	global_store_byte v[3:4], v1, off
	global_store_byte v[3:4], v0, off offset:256
	global_store_byte v[3:4], v2, off offset:512
	s_endpgm
	.section	.rodata,"a",@progbits
	.p2align	6, 0x0
	.amdhsa_kernel _Z6kernelI10flag_tailsaLj256ELj3ELb0ELj100EEvPKT0_PS1_
		.amdhsa_group_segment_fixed_size 512
		.amdhsa_private_segment_fixed_size 0
		.amdhsa_kernarg_size 16
		.amdhsa_user_sgpr_count 6
		.amdhsa_user_sgpr_private_segment_buffer 1
		.amdhsa_user_sgpr_dispatch_ptr 0
		.amdhsa_user_sgpr_queue_ptr 0
		.amdhsa_user_sgpr_kernarg_segment_ptr 1
		.amdhsa_user_sgpr_dispatch_id 0
		.amdhsa_user_sgpr_flat_scratch_init 0
		.amdhsa_user_sgpr_private_segment_size 0
		.amdhsa_uses_dynamic_stack 0
		.amdhsa_system_sgpr_private_segment_wavefront_offset 0
		.amdhsa_system_sgpr_workgroup_id_x 1
		.amdhsa_system_sgpr_workgroup_id_y 0
		.amdhsa_system_sgpr_workgroup_id_z 0
		.amdhsa_system_sgpr_workgroup_info 0
		.amdhsa_system_vgpr_workitem_id 0
		.amdhsa_next_free_vgpr 6
		.amdhsa_next_free_sgpr 14
		.amdhsa_reserve_vcc 1
		.amdhsa_reserve_flat_scratch 0
		.amdhsa_float_round_mode_32 0
		.amdhsa_float_round_mode_16_64 0
		.amdhsa_float_denorm_mode_32 3
		.amdhsa_float_denorm_mode_16_64 3
		.amdhsa_dx10_clamp 1
		.amdhsa_ieee_mode 1
		.amdhsa_fp16_overflow 0
		.amdhsa_exception_fp_ieee_invalid_op 0
		.amdhsa_exception_fp_denorm_src 0
		.amdhsa_exception_fp_ieee_div_zero 0
		.amdhsa_exception_fp_ieee_overflow 0
		.amdhsa_exception_fp_ieee_underflow 0
		.amdhsa_exception_fp_ieee_inexact 0
		.amdhsa_exception_int_div_zero 0
	.end_amdhsa_kernel
	.section	.text._Z6kernelI10flag_tailsaLj256ELj3ELb0ELj100EEvPKT0_PS1_,"axG",@progbits,_Z6kernelI10flag_tailsaLj256ELj3ELb0ELj100EEvPKT0_PS1_,comdat
.Lfunc_end52:
	.size	_Z6kernelI10flag_tailsaLj256ELj3ELb0ELj100EEvPKT0_PS1_, .Lfunc_end52-_Z6kernelI10flag_tailsaLj256ELj3ELb0ELj100EEvPKT0_PS1_
                                        ; -- End function
	.set _Z6kernelI10flag_tailsaLj256ELj3ELb0ELj100EEvPKT0_PS1_.num_vgpr, 6
	.set _Z6kernelI10flag_tailsaLj256ELj3ELb0ELj100EEvPKT0_PS1_.num_agpr, 0
	.set _Z6kernelI10flag_tailsaLj256ELj3ELb0ELj100EEvPKT0_PS1_.numbered_sgpr, 14
	.set _Z6kernelI10flag_tailsaLj256ELj3ELb0ELj100EEvPKT0_PS1_.num_named_barrier, 0
	.set _Z6kernelI10flag_tailsaLj256ELj3ELb0ELj100EEvPKT0_PS1_.private_seg_size, 0
	.set _Z6kernelI10flag_tailsaLj256ELj3ELb0ELj100EEvPKT0_PS1_.uses_vcc, 1
	.set _Z6kernelI10flag_tailsaLj256ELj3ELb0ELj100EEvPKT0_PS1_.uses_flat_scratch, 0
	.set _Z6kernelI10flag_tailsaLj256ELj3ELb0ELj100EEvPKT0_PS1_.has_dyn_sized_stack, 0
	.set _Z6kernelI10flag_tailsaLj256ELj3ELb0ELj100EEvPKT0_PS1_.has_recursion, 0
	.set _Z6kernelI10flag_tailsaLj256ELj3ELb0ELj100EEvPKT0_PS1_.has_indirect_call, 0
	.section	.AMDGPU.csdata,"",@progbits
; Kernel info:
; codeLenInByte = 324
; TotalNumSgprs: 18
; NumVgprs: 6
; ScratchSize: 0
; MemoryBound: 0
; FloatMode: 240
; IeeeMode: 1
; LDSByteSize: 512 bytes/workgroup (compile time only)
; SGPRBlocks: 2
; VGPRBlocks: 1
; NumSGPRsForWavesPerEU: 18
; NumVGPRsForWavesPerEU: 6
; Occupancy: 10
; WaveLimiterHint : 1
; COMPUTE_PGM_RSRC2:SCRATCH_EN: 0
; COMPUTE_PGM_RSRC2:USER_SGPR: 6
; COMPUTE_PGM_RSRC2:TRAP_HANDLER: 0
; COMPUTE_PGM_RSRC2:TGID_X_EN: 1
; COMPUTE_PGM_RSRC2:TGID_Y_EN: 0
; COMPUTE_PGM_RSRC2:TGID_Z_EN: 0
; COMPUTE_PGM_RSRC2:TIDIG_COMP_CNT: 0
	.section	.text._Z6kernelI10flag_tailsaLj256ELj4ELb0ELj100EEvPKT0_PS1_,"axG",@progbits,_Z6kernelI10flag_tailsaLj256ELj4ELb0ELj100EEvPKT0_PS1_,comdat
	.protected	_Z6kernelI10flag_tailsaLj256ELj4ELb0ELj100EEvPKT0_PS1_ ; -- Begin function _Z6kernelI10flag_tailsaLj256ELj4ELb0ELj100EEvPKT0_PS1_
	.globl	_Z6kernelI10flag_tailsaLj256ELj4ELb0ELj100EEvPKT0_PS1_
	.p2align	8
	.type	_Z6kernelI10flag_tailsaLj256ELj4ELb0ELj100EEvPKT0_PS1_,@function
_Z6kernelI10flag_tailsaLj256ELj4ELb0ELj100EEvPKT0_PS1_: ; @_Z6kernelI10flag_tailsaLj256ELj4ELb0ELj100EEvPKT0_PS1_
; %bb.0:
	s_load_dwordx4 s[0:3], s[4:5], 0x0
	s_lshl_b32 s10, s6, 10
	s_movk_i32 s11, 0xff
	v_cmp_ne_u32_e32 vcc, s11, v0
	s_movk_i32 s12, 0x64
	s_waitcnt lgkmcnt(0)
	s_add_u32 s0, s0, s10
	s_addc_u32 s1, s1, 0
	global_load_ubyte v1, v0, s[0:1] offset:256
	global_load_ubyte v2, v0, s[0:1] offset:512
	global_load_ubyte v3, v0, s[0:1]
	global_load_ubyte v4, v0, s[0:1] offset:768
	s_mov_b32 s0, 0xc0c0004
	s_waitcnt vmcnt(1)
	v_perm_b32 v1, v3, v1, s0
	s_waitcnt vmcnt(0)
	v_perm_b32 v2, v2, v4, s0
	v_lshl_or_b32 v1, v2, 16, v1
	s_branch .LBB53_2
.LBB53_1:                               ;   in Loop: Header=BB53_2 Depth=1
	s_or_b64 exec, exec, s[8:9]
	v_cndmask_b32_e64 v3, 0, 1, s[6:7]
	v_cndmask_b32_e64 v4, 0, 1, s[4:5]
	;; [unrolled: 1-line block ×3, first 2 shown]
	v_add_u16_e32 v5, v5, v1
	v_add_u16_sdwa v4, v4, v1 dst_sel:BYTE_1 dst_unused:UNUSED_PAD src0_sel:DWORD src1_sel:BYTE_1
	v_add_u16_sdwa v3, v3, v1 dst_sel:DWORD dst_unused:UNUSED_PAD src0_sel:DWORD src1_sel:WORD_1
	v_add_u16_sdwa v1, v2, v1 dst_sel:BYTE_1 dst_unused:UNUSED_PAD src0_sel:DWORD src1_sel:BYTE_3
	v_or_b32_sdwa v4, v5, v4 dst_sel:DWORD dst_unused:UNUSED_PAD src0_sel:BYTE_0 src1_sel:DWORD
	v_or_b32_sdwa v1, v3, v1 dst_sel:WORD_1 dst_unused:UNUSED_PAD src0_sel:BYTE_0 src1_sel:DWORD
	s_add_i32 s12, s12, -1
	v_or_b32_sdwa v1, v4, v1 dst_sel:DWORD dst_unused:UNUSED_PAD src0_sel:WORD_0 src1_sel:DWORD
	s_cmp_lg_u32 s12, 0
	s_barrier
	s_cbranch_scc0 .LBB53_4
.LBB53_2:                               ; =>This Inner Loop Header: Depth=1
	v_lshrrev_b32_e32 v2, 8, v1
	v_and_b32_sdwa v3, v1, s11 dst_sel:DWORD dst_unused:UNUSED_PAD src0_sel:WORD_1 src1_sel:DWORD
	v_cmp_eq_u16_sdwa s[0:1], v1, v2 src0_sel:BYTE_0 src1_sel:BYTE_0
	v_cmp_eq_u16_sdwa s[4:5], v2, v3 src0_sel:BYTE_0 src1_sel:DWORD
	v_cmp_eq_u16_sdwa s[6:7], v3, v1 src0_sel:DWORD src1_sel:BYTE_3
	v_mov_b32_e32 v2, 1
	ds_write_b8 v0, v1 offset:256
	s_waitcnt lgkmcnt(0)
	s_barrier
	s_and_saveexec_b64 s[8:9], vcc
	s_cbranch_execz .LBB53_1
; %bb.3:                                ;   in Loop: Header=BB53_2 Depth=1
	ds_read_u8 v2, v0 offset:257
	s_waitcnt lgkmcnt(0)
	v_cmp_eq_u16_sdwa s[14:15], v1, v2 src0_sel:BYTE_3 src1_sel:DWORD
	v_cndmask_b32_e64 v2, 0, 1, s[14:15]
	s_branch .LBB53_1
.LBB53_4:
	s_add_u32 s0, s2, s10
	s_addc_u32 s1, s3, 0
	v_mov_b32_e32 v3, s1
	v_add_co_u32_e32 v2, vcc, s0, v0
	v_addc_co_u32_e32 v3, vcc, 0, v3, vcc
	v_lshrrev_b32_e32 v0, 8, v1
	global_store_byte v[2:3], v1, off
	global_store_byte v[2:3], v0, off offset:256
	global_store_byte_d16_hi v[2:3], v1, off offset:512
	v_lshrrev_b32_e32 v0, 24, v1
	global_store_byte v[2:3], v0, off offset:768
	s_endpgm
	.section	.rodata,"a",@progbits
	.p2align	6, 0x0
	.amdhsa_kernel _Z6kernelI10flag_tailsaLj256ELj4ELb0ELj100EEvPKT0_PS1_
		.amdhsa_group_segment_fixed_size 512
		.amdhsa_private_segment_fixed_size 0
		.amdhsa_kernarg_size 16
		.amdhsa_user_sgpr_count 6
		.amdhsa_user_sgpr_private_segment_buffer 1
		.amdhsa_user_sgpr_dispatch_ptr 0
		.amdhsa_user_sgpr_queue_ptr 0
		.amdhsa_user_sgpr_kernarg_segment_ptr 1
		.amdhsa_user_sgpr_dispatch_id 0
		.amdhsa_user_sgpr_flat_scratch_init 0
		.amdhsa_user_sgpr_private_segment_size 0
		.amdhsa_uses_dynamic_stack 0
		.amdhsa_system_sgpr_private_segment_wavefront_offset 0
		.amdhsa_system_sgpr_workgroup_id_x 1
		.amdhsa_system_sgpr_workgroup_id_y 0
		.amdhsa_system_sgpr_workgroup_id_z 0
		.amdhsa_system_sgpr_workgroup_info 0
		.amdhsa_system_vgpr_workitem_id 0
		.amdhsa_next_free_vgpr 6
		.amdhsa_next_free_sgpr 16
		.amdhsa_reserve_vcc 1
		.amdhsa_reserve_flat_scratch 0
		.amdhsa_float_round_mode_32 0
		.amdhsa_float_round_mode_16_64 0
		.amdhsa_float_denorm_mode_32 3
		.amdhsa_float_denorm_mode_16_64 3
		.amdhsa_dx10_clamp 1
		.amdhsa_ieee_mode 1
		.amdhsa_fp16_overflow 0
		.amdhsa_exception_fp_ieee_invalid_op 0
		.amdhsa_exception_fp_denorm_src 0
		.amdhsa_exception_fp_ieee_div_zero 0
		.amdhsa_exception_fp_ieee_overflow 0
		.amdhsa_exception_fp_ieee_underflow 0
		.amdhsa_exception_fp_ieee_inexact 0
		.amdhsa_exception_int_div_zero 0
	.end_amdhsa_kernel
	.section	.text._Z6kernelI10flag_tailsaLj256ELj4ELb0ELj100EEvPKT0_PS1_,"axG",@progbits,_Z6kernelI10flag_tailsaLj256ELj4ELb0ELj100EEvPKT0_PS1_,comdat
.Lfunc_end53:
	.size	_Z6kernelI10flag_tailsaLj256ELj4ELb0ELj100EEvPKT0_PS1_, .Lfunc_end53-_Z6kernelI10flag_tailsaLj256ELj4ELb0ELj100EEvPKT0_PS1_
                                        ; -- End function
	.set _Z6kernelI10flag_tailsaLj256ELj4ELb0ELj100EEvPKT0_PS1_.num_vgpr, 6
	.set _Z6kernelI10flag_tailsaLj256ELj4ELb0ELj100EEvPKT0_PS1_.num_agpr, 0
	.set _Z6kernelI10flag_tailsaLj256ELj4ELb0ELj100EEvPKT0_PS1_.numbered_sgpr, 16
	.set _Z6kernelI10flag_tailsaLj256ELj4ELb0ELj100EEvPKT0_PS1_.num_named_barrier, 0
	.set _Z6kernelI10flag_tailsaLj256ELj4ELb0ELj100EEvPKT0_PS1_.private_seg_size, 0
	.set _Z6kernelI10flag_tailsaLj256ELj4ELb0ELj100EEvPKT0_PS1_.uses_vcc, 1
	.set _Z6kernelI10flag_tailsaLj256ELj4ELb0ELj100EEvPKT0_PS1_.uses_flat_scratch, 0
	.set _Z6kernelI10flag_tailsaLj256ELj4ELb0ELj100EEvPKT0_PS1_.has_dyn_sized_stack, 0
	.set _Z6kernelI10flag_tailsaLj256ELj4ELb0ELj100EEvPKT0_PS1_.has_recursion, 0
	.set _Z6kernelI10flag_tailsaLj256ELj4ELb0ELj100EEvPKT0_PS1_.has_indirect_call, 0
	.section	.AMDGPU.csdata,"",@progbits
; Kernel info:
; codeLenInByte = 368
; TotalNumSgprs: 20
; NumVgprs: 6
; ScratchSize: 0
; MemoryBound: 0
; FloatMode: 240
; IeeeMode: 1
; LDSByteSize: 512 bytes/workgroup (compile time only)
; SGPRBlocks: 2
; VGPRBlocks: 1
; NumSGPRsForWavesPerEU: 20
; NumVGPRsForWavesPerEU: 6
; Occupancy: 10
; WaveLimiterHint : 1
; COMPUTE_PGM_RSRC2:SCRATCH_EN: 0
; COMPUTE_PGM_RSRC2:USER_SGPR: 6
; COMPUTE_PGM_RSRC2:TRAP_HANDLER: 0
; COMPUTE_PGM_RSRC2:TGID_X_EN: 1
; COMPUTE_PGM_RSRC2:TGID_Y_EN: 0
; COMPUTE_PGM_RSRC2:TGID_Z_EN: 0
; COMPUTE_PGM_RSRC2:TIDIG_COMP_CNT: 0
	.section	.text._Z6kernelI10flag_tailsaLj256ELj8ELb0ELj100EEvPKT0_PS1_,"axG",@progbits,_Z6kernelI10flag_tailsaLj256ELj8ELb0ELj100EEvPKT0_PS1_,comdat
	.protected	_Z6kernelI10flag_tailsaLj256ELj8ELb0ELj100EEvPKT0_PS1_ ; -- Begin function _Z6kernelI10flag_tailsaLj256ELj8ELb0ELj100EEvPKT0_PS1_
	.globl	_Z6kernelI10flag_tailsaLj256ELj8ELb0ELj100EEvPKT0_PS1_
	.p2align	8
	.type	_Z6kernelI10flag_tailsaLj256ELj8ELb0ELj100EEvPKT0_PS1_,@function
_Z6kernelI10flag_tailsaLj256ELj8ELb0ELj100EEvPKT0_PS1_: ; @_Z6kernelI10flag_tailsaLj256ELj8ELb0ELj100EEvPKT0_PS1_
; %bb.0:
	s_load_dwordx4 s[0:3], s[4:5], 0x0
	s_lshl_b32 s4, s6, 11
	s_movk_i32 s5, 0xff
	s_movk_i32 s6, 0x64
	;; [unrolled: 1-line block ×3, first 2 shown]
	s_waitcnt lgkmcnt(0)
	s_add_u32 s0, s0, s4
	s_addc_u32 s1, s1, 0
	global_load_ubyte v1, v0, s[0:1] offset:256
	global_load_ubyte v2, v0, s[0:1] offset:1536
	;; [unrolled: 1-line block ×4, first 2 shown]
	global_load_ubyte v5, v0, s[0:1]
	global_load_ubyte v6, v0, s[0:1] offset:768
	global_load_ubyte v7, v0, s[0:1] offset:1280
	global_load_ubyte v8, v0, s[0:1] offset:1792
	s_mov_b32 s0, 0xc0c0004
	s_mov_b32 s8, 0x3020104
	v_cmp_ne_u32_e32 vcc, s5, v0
	s_waitcnt vmcnt(3)
	v_perm_b32 v1, v5, v1, s0
	s_waitcnt vmcnt(2)
	v_perm_b32 v4, v4, v6, s0
	;; [unrolled: 2-line block ×4, first 2 shown]
	v_lshl_or_b32 v1, v4, 16, v1
	v_lshl_or_b32 v2, v2, 16, v3
	v_mov_b32_e32 v5, 8
	s_branch .LBB54_2
.LBB54_1:                               ;   in Loop: Header=BB54_2 Depth=1
	s_or_b64 exec, exec, s[0:1]
	v_add_u16_e32 v8, v9, v1
	v_add_u16_sdwa v7, v9, v7 dst_sel:BYTE_1 dst_unused:UNUSED_PAD src0_sel:BYTE_1 src1_sel:DWORD
	v_or_b32_sdwa v7, v8, v7 dst_sel:DWORD dst_unused:UNUSED_PAD src0_sel:BYTE_0 src1_sel:DWORD
	v_add_u16_sdwa v1, v9, v1 dst_sel:DWORD dst_unused:UNUSED_PAD src0_sel:WORD_1 src1_sel:WORD_1
	v_add_u16_sdwa v8, v9, v3 dst_sel:BYTE_1 dst_unused:UNUSED_PAD src0_sel:BYTE_3 src1_sel:DWORD
	v_or_b32_sdwa v3, v1, v8 dst_sel:DWORD dst_unused:UNUSED_PAD src0_sel:BYTE_0 src1_sel:DWORD
	v_add_u16_e32 v1, v4, v2
	v_add_u16_sdwa v6, v4, v6 dst_sel:BYTE_1 dst_unused:UNUSED_PAD src0_sel:BYTE_1 src1_sel:DWORD
	v_or_b32_sdwa v6, v1, v6 dst_sel:DWORD dst_unused:UNUSED_PAD src0_sel:BYTE_0 src1_sel:DWORD
	v_add_u16_sdwa v1, v4, v2 dst_sel:DWORD dst_unused:UNUSED_PAD src0_sel:WORD_1 src1_sel:WORD_1
	v_add_u16_sdwa v2, v4, v2 dst_sel:BYTE_1 dst_unused:UNUSED_PAD src0_sel:BYTE_3 src1_sel:BYTE_3
	v_or_b32_sdwa v4, v1, v2 dst_sel:DWORD dst_unused:UNUSED_PAD src0_sel:BYTE_0 src1_sel:DWORD
	v_lshrrev_b32_sdwa v1, v5, v7 dst_sel:BYTE_1 dst_unused:UNUSED_PAD src0_sel:DWORD src1_sel:WORD_0
	v_lshrrev_b32_sdwa v8, v5, v8 dst_sel:BYTE_1 dst_unused:UNUSED_PAD src0_sel:DWORD src1_sel:DWORD
	v_lshrrev_b32_sdwa v9, v5, v6 dst_sel:BYTE_1 dst_unused:UNUSED_PAD src0_sel:DWORD src1_sel:WORD_0
	v_lshrrev_b32_sdwa v2, v5, v2 dst_sel:BYTE_1 dst_unused:UNUSED_PAD src0_sel:DWORD src1_sel:DWORD
	v_or_b32_sdwa v1, v7, v1 dst_sel:DWORD dst_unused:UNUSED_PAD src0_sel:BYTE_0 src1_sel:DWORD
	v_or_b32_sdwa v8, v3, v8 dst_sel:WORD_1 dst_unused:UNUSED_PAD src0_sel:BYTE_0 src1_sel:DWORD
	v_or_b32_sdwa v1, v1, v8 dst_sel:DWORD dst_unused:UNUSED_PAD src0_sel:WORD_0 src1_sel:DWORD
	v_or_b32_sdwa v8, v6, v9 dst_sel:DWORD dst_unused:UNUSED_PAD src0_sel:BYTE_0 src1_sel:DWORD
	v_or_b32_sdwa v2, v4, v2 dst_sel:WORD_1 dst_unused:UNUSED_PAD src0_sel:BYTE_0 src1_sel:DWORD
	s_add_i32 s6, s6, -1
	s_cmp_lg_u32 s6, 0
	v_or_b32_sdwa v2, v8, v2 dst_sel:DWORD dst_unused:UNUSED_PAD src0_sel:WORD_0 src1_sel:DWORD
	s_barrier
	s_cbranch_scc0 .LBB54_4
.LBB54_2:                               ; =>This Inner Loop Header: Depth=1
	v_lshrrev_b32_e32 v6, 8, v2
	v_and_b32_sdwa v8, v2, s5 dst_sel:DWORD dst_unused:UNUSED_PAD src0_sel:WORD_1 src1_sel:DWORD
	v_lshrrev_b64 v[3:4], 24, v[1:2]
	v_cmp_eq_u16_sdwa s[0:1], v2, v6 src0_sel:BYTE_0 src1_sel:BYTE_0
	v_cndmask_b32_e64 v4, 0, 1, s[0:1]
	v_cmp_eq_u16_sdwa s[0:1], v6, v8 src0_sel:BYTE_0 src1_sel:DWORD
	v_and_b32_sdwa v9, v1, s5 dst_sel:DWORD dst_unused:UNUSED_PAD src0_sel:WORD_1 src1_sel:DWORD
	v_cndmask_b32_e64 v11, 0, 1, s[0:1]
	v_cmp_eq_u16_sdwa s[0:1], v8, v2 src0_sel:DWORD src1_sel:BYTE_3
	v_lshrrev_b32_e32 v7, 8, v1
	v_cndmask_b32_e64 v12, 0, 1, s[0:1]
	v_cmp_eq_u16_sdwa s[0:1], v1, v9 src0_sel:BYTE_1 src1_sel:DWORD
	v_cndmask_b32_e64 v8, 0, 1, s[0:1]
	v_cmp_eq_u16_sdwa s[0:1], v1, v7 src0_sel:BYTE_0 src1_sel:BYTE_0
	v_lshlrev_b16_e32 v8, 8, v8
	v_cndmask_b32_e64 v10, 0, 1, s[0:1]
	v_cmp_eq_u16_sdwa s[0:1], v1, v2 src0_sel:BYTE_3 src1_sel:BYTE_0
	v_or_b32_e32 v8, v10, v8
	v_cndmask_b32_e64 v10, 0, 1, s[0:1]
	v_cmp_eq_u16_sdwa s[0:1], v9, v3 src0_sel:DWORD src1_sel:BYTE_0
	v_lshlrev_b16_e32 v13, 8, v10
	v_cndmask_b32_e64 v9, 0, 1, s[0:1]
	v_or_b32_e32 v10, v9, v13
	v_lshlrev_b16_e32 v9, 8, v11
	v_or_b32_e32 v4, v4, v9
	v_or_b32_sdwa v9, v12, s7 dst_sel:WORD_1 dst_unused:UNUSED_PAD src0_sel:DWORD src1_sel:DWORD
	v_or_b32_sdwa v4, v4, v9 dst_sel:DWORD dst_unused:UNUSED_PAD src0_sel:WORD_0 src1_sel:DWORD
	v_and_b32_e32 v9, 1, v8
	v_lshrrev_b32_sdwa v11, v5, v8 dst_sel:BYTE_1 dst_unused:UNUSED_PAD src0_sel:DWORD src1_sel:WORD_0
	v_or_b32_e32 v9, v9, v11
	v_and_b32_e32 v11, 1, v10
	v_lshrrev_b32_sdwa v12, v5, v13 dst_sel:BYTE_1 dst_unused:UNUSED_PAD src0_sel:DWORD src1_sel:DWORD
	v_or_b32_sdwa v11, v11, v12 dst_sel:WORD_1 dst_unused:UNUSED_PAD src0_sel:DWORD src1_sel:DWORD
	v_or_b32_sdwa v9, v9, v11 dst_sel:DWORD dst_unused:UNUSED_PAD src0_sel:WORD_0 src1_sel:DWORD
	ds_write_b8 v0, v1 offset:256
	s_waitcnt lgkmcnt(0)
	s_barrier
	s_and_saveexec_b64 s[0:1], vcc
	s_cbranch_execz .LBB54_1
; %bb.3:                                ;   in Loop: Header=BB54_2 Depth=1
	ds_read_u8 v11, v0 offset:257
	v_lshlrev_b32_e32 v9, 16, v10
	v_or_b32_sdwa v8, v8, v9 dst_sel:DWORD dst_unused:UNUSED_PAD src0_sel:WORD_0 src1_sel:DWORD
	v_perm_b32 v9, v8, v8, s8
	v_lshrrev_b32_sdwa v10, v5, v4 dst_sel:BYTE_1 dst_unused:UNUSED_PAD src0_sel:DWORD src1_sel:DWORD
	s_waitcnt lgkmcnt(0)
	v_cmp_eq_u16_sdwa s[10:11], v2, v11 src0_sel:BYTE_3 src1_sel:DWORD
	v_cndmask_b32_e64 v8, 0, 1, s[10:11]
	v_or_b32_sdwa v10, v4, v10 dst_sel:DWORD dst_unused:UNUSED_PAD src0_sel:BYTE_0 src1_sel:DWORD
	v_and_b32_sdwa v4, v4, s5 dst_sel:DWORD dst_unused:UNUSED_PAD src0_sel:WORD_1 src1_sel:DWORD
	v_lshlrev_b16_e32 v8, 8, v8
	v_or_b32_sdwa v4, v4, v8 dst_sel:WORD_1 dst_unused:UNUSED_PAD src0_sel:DWORD src1_sel:DWORD
	v_or_b32_sdwa v4, v10, v4 dst_sel:DWORD dst_unused:UNUSED_PAD src0_sel:WORD_0 src1_sel:DWORD
	s_branch .LBB54_1
.LBB54_4:
	v_lshlrev_b32_e32 v1, 16, v3
	s_add_u32 s0, s2, s4
	v_or_b32_sdwa v2, v7, v1 dst_sel:DWORD dst_unused:UNUSED_PAD src0_sel:WORD_0 src1_sel:DWORD
	v_lshlrev_b32_e32 v1, 16, v4
	s_addc_u32 s1, s3, 0
	v_or_b32_sdwa v3, v6, v1 dst_sel:DWORD dst_unused:UNUSED_PAD src0_sel:WORD_0 src1_sel:DWORD
	v_mov_b32_e32 v1, s1
	v_add_co_u32_e32 v0, vcc, s0, v0
	v_addc_co_u32_e32 v1, vcc, 0, v1, vcc
	v_lshrrev_b32_e32 v4, 8, v2
	global_store_byte v[0:1], v2, off
	global_store_byte v[0:1], v4, off offset:256
	global_store_byte_d16_hi v[0:1], v2, off offset:512
	v_lshrrev_b32_e32 v2, 24, v2
	global_store_byte v[0:1], v2, off offset:768
	global_store_byte v[0:1], v3, off offset:1024
	v_lshrrev_b32_e32 v2, 8, v3
	global_store_byte v[0:1], v2, off offset:1280
	global_store_byte_d16_hi v[0:1], v3, off offset:1536
	v_lshrrev_b32_e32 v2, 24, v3
	global_store_byte v[0:1], v2, off offset:1792
	s_endpgm
	.section	.rodata,"a",@progbits
	.p2align	6, 0x0
	.amdhsa_kernel _Z6kernelI10flag_tailsaLj256ELj8ELb0ELj100EEvPKT0_PS1_
		.amdhsa_group_segment_fixed_size 512
		.amdhsa_private_segment_fixed_size 0
		.amdhsa_kernarg_size 16
		.amdhsa_user_sgpr_count 6
		.amdhsa_user_sgpr_private_segment_buffer 1
		.amdhsa_user_sgpr_dispatch_ptr 0
		.amdhsa_user_sgpr_queue_ptr 0
		.amdhsa_user_sgpr_kernarg_segment_ptr 1
		.amdhsa_user_sgpr_dispatch_id 0
		.amdhsa_user_sgpr_flat_scratch_init 0
		.amdhsa_user_sgpr_private_segment_size 0
		.amdhsa_uses_dynamic_stack 0
		.amdhsa_system_sgpr_private_segment_wavefront_offset 0
		.amdhsa_system_sgpr_workgroup_id_x 1
		.amdhsa_system_sgpr_workgroup_id_y 0
		.amdhsa_system_sgpr_workgroup_id_z 0
		.amdhsa_system_sgpr_workgroup_info 0
		.amdhsa_system_vgpr_workitem_id 0
		.amdhsa_next_free_vgpr 14
		.amdhsa_next_free_sgpr 12
		.amdhsa_reserve_vcc 1
		.amdhsa_reserve_flat_scratch 0
		.amdhsa_float_round_mode_32 0
		.amdhsa_float_round_mode_16_64 0
		.amdhsa_float_denorm_mode_32 3
		.amdhsa_float_denorm_mode_16_64 3
		.amdhsa_dx10_clamp 1
		.amdhsa_ieee_mode 1
		.amdhsa_fp16_overflow 0
		.amdhsa_exception_fp_ieee_invalid_op 0
		.amdhsa_exception_fp_denorm_src 0
		.amdhsa_exception_fp_ieee_div_zero 0
		.amdhsa_exception_fp_ieee_overflow 0
		.amdhsa_exception_fp_ieee_underflow 0
		.amdhsa_exception_fp_ieee_inexact 0
		.amdhsa_exception_int_div_zero 0
	.end_amdhsa_kernel
	.section	.text._Z6kernelI10flag_tailsaLj256ELj8ELb0ELj100EEvPKT0_PS1_,"axG",@progbits,_Z6kernelI10flag_tailsaLj256ELj8ELb0ELj100EEvPKT0_PS1_,comdat
.Lfunc_end54:
	.size	_Z6kernelI10flag_tailsaLj256ELj8ELb0ELj100EEvPKT0_PS1_, .Lfunc_end54-_Z6kernelI10flag_tailsaLj256ELj8ELb0ELj100EEvPKT0_PS1_
                                        ; -- End function
	.set _Z6kernelI10flag_tailsaLj256ELj8ELb0ELj100EEvPKT0_PS1_.num_vgpr, 14
	.set _Z6kernelI10flag_tailsaLj256ELj8ELb0ELj100EEvPKT0_PS1_.num_agpr, 0
	.set _Z6kernelI10flag_tailsaLj256ELj8ELb0ELj100EEvPKT0_PS1_.numbered_sgpr, 12
	.set _Z6kernelI10flag_tailsaLj256ELj8ELb0ELj100EEvPKT0_PS1_.num_named_barrier, 0
	.set _Z6kernelI10flag_tailsaLj256ELj8ELb0ELj100EEvPKT0_PS1_.private_seg_size, 0
	.set _Z6kernelI10flag_tailsaLj256ELj8ELb0ELj100EEvPKT0_PS1_.uses_vcc, 1
	.set _Z6kernelI10flag_tailsaLj256ELj8ELb0ELj100EEvPKT0_PS1_.uses_flat_scratch, 0
	.set _Z6kernelI10flag_tailsaLj256ELj8ELb0ELj100EEvPKT0_PS1_.has_dyn_sized_stack, 0
	.set _Z6kernelI10flag_tailsaLj256ELj8ELb0ELj100EEvPKT0_PS1_.has_recursion, 0
	.set _Z6kernelI10flag_tailsaLj256ELj8ELb0ELj100EEvPKT0_PS1_.has_indirect_call, 0
	.section	.AMDGPU.csdata,"",@progbits
; Kernel info:
; codeLenInByte = 856
; TotalNumSgprs: 16
; NumVgprs: 14
; ScratchSize: 0
; MemoryBound: 0
; FloatMode: 240
; IeeeMode: 1
; LDSByteSize: 512 bytes/workgroup (compile time only)
; SGPRBlocks: 1
; VGPRBlocks: 3
; NumSGPRsForWavesPerEU: 16
; NumVGPRsForWavesPerEU: 14
; Occupancy: 10
; WaveLimiterHint : 1
; COMPUTE_PGM_RSRC2:SCRATCH_EN: 0
; COMPUTE_PGM_RSRC2:USER_SGPR: 6
; COMPUTE_PGM_RSRC2:TRAP_HANDLER: 0
; COMPUTE_PGM_RSRC2:TGID_X_EN: 1
; COMPUTE_PGM_RSRC2:TGID_Y_EN: 0
; COMPUTE_PGM_RSRC2:TGID_Z_EN: 0
; COMPUTE_PGM_RSRC2:TIDIG_COMP_CNT: 0
	.section	.text._Z6kernelI10flag_tailsaLj256ELj1ELb1ELj100EEvPKT0_PS1_,"axG",@progbits,_Z6kernelI10flag_tailsaLj256ELj1ELb1ELj100EEvPKT0_PS1_,comdat
	.protected	_Z6kernelI10flag_tailsaLj256ELj1ELb1ELj100EEvPKT0_PS1_ ; -- Begin function _Z6kernelI10flag_tailsaLj256ELj1ELb1ELj100EEvPKT0_PS1_
	.globl	_Z6kernelI10flag_tailsaLj256ELj1ELb1ELj100EEvPKT0_PS1_
	.p2align	8
	.type	_Z6kernelI10flag_tailsaLj256ELj1ELb1ELj100EEvPKT0_PS1_,@function
_Z6kernelI10flag_tailsaLj256ELj1ELb1ELj100EEvPKT0_PS1_: ; @_Z6kernelI10flag_tailsaLj256ELj1ELb1ELj100EEvPKT0_PS1_
; %bb.0:
	s_load_dwordx4 s[0:3], s[4:5], 0x0
	s_lshl_b32 s4, s6, 8
	s_movk_i32 s5, 0x64
	s_waitcnt lgkmcnt(0)
	s_add_u32 s0, s0, s4
	s_addc_u32 s1, s1, 0
	global_load_ubyte v1, v0, s[0:1]
	s_movk_i32 s0, 0xff
	v_cmp_ne_u32_e32 vcc, s0, v0
	s_branch .LBB55_2
.LBB55_1:                               ;   in Loop: Header=BB55_2 Depth=1
	s_or_b64 exec, exec, s[0:1]
	s_waitcnt lgkmcnt(0)
	v_cmp_eq_u16_sdwa s[0:1], v1, v2 src0_sel:BYTE_0 src1_sel:BYTE_0
	v_cndmask_b32_e64 v2, 0, 1, s[0:1]
	s_add_i32 s5, s5, -1
	v_add_u16_e32 v1, v1, v2
	s_cmp_lg_u32 s5, 0
	s_barrier
	s_cbranch_scc0 .LBB55_4
.LBB55_2:                               ; =>This Inner Loop Header: Depth=1
	v_mov_b32_e32 v2, 0x7b
	s_waitcnt vmcnt(0)
	ds_write_b8 v0, v1 offset:256
	s_waitcnt lgkmcnt(0)
	s_barrier
	s_and_saveexec_b64 s[0:1], vcc
	s_cbranch_execz .LBB55_1
; %bb.3:                                ;   in Loop: Header=BB55_2 Depth=1
	ds_read_u8 v2, v0 offset:257
	s_branch .LBB55_1
.LBB55_4:
	s_add_u32 s0, s2, s4
	s_addc_u32 s1, s3, 0
	v_mov_b32_e32 v3, s1
	v_add_co_u32_e32 v2, vcc, s0, v0
	v_addc_co_u32_e32 v3, vcc, 0, v3, vcc
	global_store_byte v[2:3], v1, off
	s_endpgm
	.section	.rodata,"a",@progbits
	.p2align	6, 0x0
	.amdhsa_kernel _Z6kernelI10flag_tailsaLj256ELj1ELb1ELj100EEvPKT0_PS1_
		.amdhsa_group_segment_fixed_size 512
		.amdhsa_private_segment_fixed_size 0
		.amdhsa_kernarg_size 16
		.amdhsa_user_sgpr_count 6
		.amdhsa_user_sgpr_private_segment_buffer 1
		.amdhsa_user_sgpr_dispatch_ptr 0
		.amdhsa_user_sgpr_queue_ptr 0
		.amdhsa_user_sgpr_kernarg_segment_ptr 1
		.amdhsa_user_sgpr_dispatch_id 0
		.amdhsa_user_sgpr_flat_scratch_init 0
		.amdhsa_user_sgpr_private_segment_size 0
		.amdhsa_uses_dynamic_stack 0
		.amdhsa_system_sgpr_private_segment_wavefront_offset 0
		.amdhsa_system_sgpr_workgroup_id_x 1
		.amdhsa_system_sgpr_workgroup_id_y 0
		.amdhsa_system_sgpr_workgroup_id_z 0
		.amdhsa_system_sgpr_workgroup_info 0
		.amdhsa_system_vgpr_workitem_id 0
		.amdhsa_next_free_vgpr 4
		.amdhsa_next_free_sgpr 7
		.amdhsa_reserve_vcc 1
		.amdhsa_reserve_flat_scratch 0
		.amdhsa_float_round_mode_32 0
		.amdhsa_float_round_mode_16_64 0
		.amdhsa_float_denorm_mode_32 3
		.amdhsa_float_denorm_mode_16_64 3
		.amdhsa_dx10_clamp 1
		.amdhsa_ieee_mode 1
		.amdhsa_fp16_overflow 0
		.amdhsa_exception_fp_ieee_invalid_op 0
		.amdhsa_exception_fp_denorm_src 0
		.amdhsa_exception_fp_ieee_div_zero 0
		.amdhsa_exception_fp_ieee_overflow 0
		.amdhsa_exception_fp_ieee_underflow 0
		.amdhsa_exception_fp_ieee_inexact 0
		.amdhsa_exception_int_div_zero 0
	.end_amdhsa_kernel
	.section	.text._Z6kernelI10flag_tailsaLj256ELj1ELb1ELj100EEvPKT0_PS1_,"axG",@progbits,_Z6kernelI10flag_tailsaLj256ELj1ELb1ELj100EEvPKT0_PS1_,comdat
.Lfunc_end55:
	.size	_Z6kernelI10flag_tailsaLj256ELj1ELb1ELj100EEvPKT0_PS1_, .Lfunc_end55-_Z6kernelI10flag_tailsaLj256ELj1ELb1ELj100EEvPKT0_PS1_
                                        ; -- End function
	.set _Z6kernelI10flag_tailsaLj256ELj1ELb1ELj100EEvPKT0_PS1_.num_vgpr, 4
	.set _Z6kernelI10flag_tailsaLj256ELj1ELb1ELj100EEvPKT0_PS1_.num_agpr, 0
	.set _Z6kernelI10flag_tailsaLj256ELj1ELb1ELj100EEvPKT0_PS1_.numbered_sgpr, 7
	.set _Z6kernelI10flag_tailsaLj256ELj1ELb1ELj100EEvPKT0_PS1_.num_named_barrier, 0
	.set _Z6kernelI10flag_tailsaLj256ELj1ELb1ELj100EEvPKT0_PS1_.private_seg_size, 0
	.set _Z6kernelI10flag_tailsaLj256ELj1ELb1ELj100EEvPKT0_PS1_.uses_vcc, 1
	.set _Z6kernelI10flag_tailsaLj256ELj1ELb1ELj100EEvPKT0_PS1_.uses_flat_scratch, 0
	.set _Z6kernelI10flag_tailsaLj256ELj1ELb1ELj100EEvPKT0_PS1_.has_dyn_sized_stack, 0
	.set _Z6kernelI10flag_tailsaLj256ELj1ELb1ELj100EEvPKT0_PS1_.has_recursion, 0
	.set _Z6kernelI10flag_tailsaLj256ELj1ELb1ELj100EEvPKT0_PS1_.has_indirect_call, 0
	.section	.AMDGPU.csdata,"",@progbits
; Kernel info:
; codeLenInByte = 172
; TotalNumSgprs: 11
; NumVgprs: 4
; ScratchSize: 0
; MemoryBound: 0
; FloatMode: 240
; IeeeMode: 1
; LDSByteSize: 512 bytes/workgroup (compile time only)
; SGPRBlocks: 1
; VGPRBlocks: 0
; NumSGPRsForWavesPerEU: 11
; NumVGPRsForWavesPerEU: 4
; Occupancy: 10
; WaveLimiterHint : 0
; COMPUTE_PGM_RSRC2:SCRATCH_EN: 0
; COMPUTE_PGM_RSRC2:USER_SGPR: 6
; COMPUTE_PGM_RSRC2:TRAP_HANDLER: 0
; COMPUTE_PGM_RSRC2:TGID_X_EN: 1
; COMPUTE_PGM_RSRC2:TGID_Y_EN: 0
; COMPUTE_PGM_RSRC2:TGID_Z_EN: 0
; COMPUTE_PGM_RSRC2:TIDIG_COMP_CNT: 0
	.section	.text._Z6kernelI10flag_tailsaLj256ELj2ELb1ELj100EEvPKT0_PS1_,"axG",@progbits,_Z6kernelI10flag_tailsaLj256ELj2ELb1ELj100EEvPKT0_PS1_,comdat
	.protected	_Z6kernelI10flag_tailsaLj256ELj2ELb1ELj100EEvPKT0_PS1_ ; -- Begin function _Z6kernelI10flag_tailsaLj256ELj2ELb1ELj100EEvPKT0_PS1_
	.globl	_Z6kernelI10flag_tailsaLj256ELj2ELb1ELj100EEvPKT0_PS1_
	.p2align	8
	.type	_Z6kernelI10flag_tailsaLj256ELj2ELb1ELj100EEvPKT0_PS1_,@function
_Z6kernelI10flag_tailsaLj256ELj2ELb1ELj100EEvPKT0_PS1_: ; @_Z6kernelI10flag_tailsaLj256ELj2ELb1ELj100EEvPKT0_PS1_
; %bb.0:
	s_load_dwordx4 s[0:3], s[4:5], 0x0
	s_lshl_b32 s4, s6, 9
	s_movk_i32 s5, 0x64
	s_waitcnt lgkmcnt(0)
	s_add_u32 s0, s0, s4
	s_addc_u32 s1, s1, 0
	global_load_ubyte v1, v0, s[0:1] offset:256
	global_load_ubyte v2, v0, s[0:1]
	s_mov_b32 s0, 0xc0c0004
	s_movk_i32 s1, 0xff
	v_cmp_ne_u32_e32 vcc, s1, v0
	s_waitcnt vmcnt(0)
	v_perm_b32 v1, v2, v1, s0
	s_branch .LBB56_2
.LBB56_1:                               ;   in Loop: Header=BB56_2 Depth=1
	s_or_b64 exec, exec, s[0:1]
	v_cmp_eq_u16_sdwa s[0:1], v1, v1 src0_sel:BYTE_0 src1_sel:BYTE_1
	v_cndmask_b32_e64 v3, 0, 1, s[0:1]
	s_waitcnt lgkmcnt(0)
	v_cmp_eq_u16_sdwa s[0:1], v1, v2 src0_sel:BYTE_1 src1_sel:BYTE_0
	v_cndmask_b32_e64 v4, 0, 1, s[0:1]
	v_add_u16_e32 v2, v1, v3
	v_add_u16_sdwa v3, v1, v4 dst_sel:DWORD dst_unused:UNUSED_PAD src0_sel:BYTE_1 src1_sel:DWORD
	v_lshlrev_b16_e32 v1, 8, v3
	v_or_b32_sdwa v1, v2, v1 dst_sel:DWORD dst_unused:UNUSED_PAD src0_sel:BYTE_0 src1_sel:DWORD
	s_add_i32 s5, s5, -1
	v_and_b32_e32 v1, 0xffff, v1
	s_cmp_lg_u32 s5, 0
	s_barrier
	s_cbranch_scc0 .LBB56_4
.LBB56_2:                               ; =>This Inner Loop Header: Depth=1
	v_mov_b32_e32 v2, 0x7b
	ds_write_b8 v0, v1 offset:256
	s_waitcnt lgkmcnt(0)
	s_barrier
	s_and_saveexec_b64 s[0:1], vcc
	s_cbranch_execz .LBB56_1
; %bb.3:                                ;   in Loop: Header=BB56_2 Depth=1
	ds_read_u8 v2, v0 offset:257
	s_branch .LBB56_1
.LBB56_4:
	s_add_u32 s0, s2, s4
	s_addc_u32 s1, s3, 0
	v_mov_b32_e32 v1, s1
	v_add_co_u32_e32 v0, vcc, s0, v0
	v_addc_co_u32_e32 v1, vcc, 0, v1, vcc
	global_store_byte v[0:1], v2, off
	global_store_byte v[0:1], v3, off offset:256
	s_endpgm
	.section	.rodata,"a",@progbits
	.p2align	6, 0x0
	.amdhsa_kernel _Z6kernelI10flag_tailsaLj256ELj2ELb1ELj100EEvPKT0_PS1_
		.amdhsa_group_segment_fixed_size 512
		.amdhsa_private_segment_fixed_size 0
		.amdhsa_kernarg_size 16
		.amdhsa_user_sgpr_count 6
		.amdhsa_user_sgpr_private_segment_buffer 1
		.amdhsa_user_sgpr_dispatch_ptr 0
		.amdhsa_user_sgpr_queue_ptr 0
		.amdhsa_user_sgpr_kernarg_segment_ptr 1
		.amdhsa_user_sgpr_dispatch_id 0
		.amdhsa_user_sgpr_flat_scratch_init 0
		.amdhsa_user_sgpr_private_segment_size 0
		.amdhsa_uses_dynamic_stack 0
		.amdhsa_system_sgpr_private_segment_wavefront_offset 0
		.amdhsa_system_sgpr_workgroup_id_x 1
		.amdhsa_system_sgpr_workgroup_id_y 0
		.amdhsa_system_sgpr_workgroup_id_z 0
		.amdhsa_system_sgpr_workgroup_info 0
		.amdhsa_system_vgpr_workitem_id 0
		.amdhsa_next_free_vgpr 5
		.amdhsa_next_free_sgpr 7
		.amdhsa_reserve_vcc 1
		.amdhsa_reserve_flat_scratch 0
		.amdhsa_float_round_mode_32 0
		.amdhsa_float_round_mode_16_64 0
		.amdhsa_float_denorm_mode_32 3
		.amdhsa_float_denorm_mode_16_64 3
		.amdhsa_dx10_clamp 1
		.amdhsa_ieee_mode 1
		.amdhsa_fp16_overflow 0
		.amdhsa_exception_fp_ieee_invalid_op 0
		.amdhsa_exception_fp_denorm_src 0
		.amdhsa_exception_fp_ieee_div_zero 0
		.amdhsa_exception_fp_ieee_overflow 0
		.amdhsa_exception_fp_ieee_underflow 0
		.amdhsa_exception_fp_ieee_inexact 0
		.amdhsa_exception_int_div_zero 0
	.end_amdhsa_kernel
	.section	.text._Z6kernelI10flag_tailsaLj256ELj2ELb1ELj100EEvPKT0_PS1_,"axG",@progbits,_Z6kernelI10flag_tailsaLj256ELj2ELb1ELj100EEvPKT0_PS1_,comdat
.Lfunc_end56:
	.size	_Z6kernelI10flag_tailsaLj256ELj2ELb1ELj100EEvPKT0_PS1_, .Lfunc_end56-_Z6kernelI10flag_tailsaLj256ELj2ELb1ELj100EEvPKT0_PS1_
                                        ; -- End function
	.set _Z6kernelI10flag_tailsaLj256ELj2ELb1ELj100EEvPKT0_PS1_.num_vgpr, 5
	.set _Z6kernelI10flag_tailsaLj256ELj2ELb1ELj100EEvPKT0_PS1_.num_agpr, 0
	.set _Z6kernelI10flag_tailsaLj256ELj2ELb1ELj100EEvPKT0_PS1_.numbered_sgpr, 7
	.set _Z6kernelI10flag_tailsaLj256ELj2ELb1ELj100EEvPKT0_PS1_.num_named_barrier, 0
	.set _Z6kernelI10flag_tailsaLj256ELj2ELb1ELj100EEvPKT0_PS1_.private_seg_size, 0
	.set _Z6kernelI10flag_tailsaLj256ELj2ELb1ELj100EEvPKT0_PS1_.uses_vcc, 1
	.set _Z6kernelI10flag_tailsaLj256ELj2ELb1ELj100EEvPKT0_PS1_.uses_flat_scratch, 0
	.set _Z6kernelI10flag_tailsaLj256ELj2ELb1ELj100EEvPKT0_PS1_.has_dyn_sized_stack, 0
	.set _Z6kernelI10flag_tailsaLj256ELj2ELb1ELj100EEvPKT0_PS1_.has_recursion, 0
	.set _Z6kernelI10flag_tailsaLj256ELj2ELb1ELj100EEvPKT0_PS1_.has_indirect_call, 0
	.section	.AMDGPU.csdata,"",@progbits
; Kernel info:
; codeLenInByte = 248
; TotalNumSgprs: 11
; NumVgprs: 5
; ScratchSize: 0
; MemoryBound: 0
; FloatMode: 240
; IeeeMode: 1
; LDSByteSize: 512 bytes/workgroup (compile time only)
; SGPRBlocks: 1
; VGPRBlocks: 1
; NumSGPRsForWavesPerEU: 11
; NumVGPRsForWavesPerEU: 5
; Occupancy: 10
; WaveLimiterHint : 1
; COMPUTE_PGM_RSRC2:SCRATCH_EN: 0
; COMPUTE_PGM_RSRC2:USER_SGPR: 6
; COMPUTE_PGM_RSRC2:TRAP_HANDLER: 0
; COMPUTE_PGM_RSRC2:TGID_X_EN: 1
; COMPUTE_PGM_RSRC2:TGID_Y_EN: 0
; COMPUTE_PGM_RSRC2:TGID_Z_EN: 0
; COMPUTE_PGM_RSRC2:TIDIG_COMP_CNT: 0
	.section	.text._Z6kernelI10flag_tailsaLj256ELj3ELb1ELj100EEvPKT0_PS1_,"axG",@progbits,_Z6kernelI10flag_tailsaLj256ELj3ELb1ELj100EEvPKT0_PS1_,comdat
	.protected	_Z6kernelI10flag_tailsaLj256ELj3ELb1ELj100EEvPKT0_PS1_ ; -- Begin function _Z6kernelI10flag_tailsaLj256ELj3ELb1ELj100EEvPKT0_PS1_
	.globl	_Z6kernelI10flag_tailsaLj256ELj3ELb1ELj100EEvPKT0_PS1_
	.p2align	8
	.type	_Z6kernelI10flag_tailsaLj256ELj3ELb1ELj100EEvPKT0_PS1_,@function
_Z6kernelI10flag_tailsaLj256ELj3ELb1ELj100EEvPKT0_PS1_: ; @_Z6kernelI10flag_tailsaLj256ELj3ELb1ELj100EEvPKT0_PS1_
; %bb.0:
	s_load_dwordx4 s[0:3], s[4:5], 0x0
	s_mul_i32 s4, s6, 0x300
	s_movk_i32 s5, 0xff
	v_cmp_ne_u32_e32 vcc, s5, v0
	s_movk_i32 s6, 0x64
	s_waitcnt lgkmcnt(0)
	s_add_u32 s0, s0, s4
	s_addc_u32 s1, s1, 0
	global_load_ubyte v1, v0, s[0:1] offset:256
	global_load_ubyte v2, v0, s[0:1] offset:512
	global_load_ubyte v3, v0, s[0:1]
	s_mov_b32 s0, 0xc0c0004
	s_waitcnt vmcnt(0)
	v_perm_b32 v1, v3, v1, s0
	v_lshl_or_b32 v1, v2, 16, v1
	s_branch .LBB57_2
.LBB57_1:                               ;   in Loop: Header=BB57_2 Depth=1
	s_or_b64 exec, exec, s[0:1]
	v_lshrrev_b32_e32 v3, 8, v1
	v_cmp_eq_u16_sdwa s[0:1], v1, v3 src0_sel:BYTE_0 src1_sel:BYTE_0
	v_and_b32_sdwa v5, v1, s5 dst_sel:DWORD dst_unused:UNUSED_PAD src0_sel:WORD_1 src1_sel:DWORD
	v_cndmask_b32_e64 v4, 0, 1, s[0:1]
	v_cmp_eq_u16_sdwa s[0:1], v3, v5 src0_sel:BYTE_0 src1_sel:DWORD
	v_cndmask_b32_e64 v6, 0, 1, s[0:1]
	s_waitcnt lgkmcnt(0)
	v_cmp_eq_u16_sdwa s[0:1], v5, v2 src0_sel:DWORD src1_sel:BYTE_0
	v_cndmask_b32_e64 v5, 0, 1, s[0:1]
	v_add_u16_e32 v2, v1, v4
	v_add_u16_e32 v3, v3, v6
	v_add_u16_sdwa v4, v1, v5 dst_sel:DWORD dst_unused:UNUSED_PAD src0_sel:WORD_1 src1_sel:DWORD
	v_lshlrev_b16_e32 v1, 8, v3
	v_and_b32_e32 v5, 0xff, v4
	v_or_b32_sdwa v1, v2, v1 dst_sel:DWORD dst_unused:UNUSED_PAD src0_sel:BYTE_0 src1_sel:DWORD
	v_lshlrev_b32_e32 v5, 16, v5
	s_add_i32 s6, s6, -1
	v_or_b32_sdwa v1, v1, v5 dst_sel:DWORD dst_unused:UNUSED_PAD src0_sel:WORD_0 src1_sel:DWORD
	s_cmp_lg_u32 s6, 0
	s_barrier
	s_cbranch_scc0 .LBB57_4
.LBB57_2:                               ; =>This Inner Loop Header: Depth=1
	v_mov_b32_e32 v2, 0x7b
	ds_write_b8 v0, v1 offset:256
	s_waitcnt lgkmcnt(0)
	s_barrier
	s_and_saveexec_b64 s[0:1], vcc
	s_cbranch_execz .LBB57_1
; %bb.3:                                ;   in Loop: Header=BB57_2 Depth=1
	ds_read_u8 v2, v0 offset:257
	s_branch .LBB57_1
.LBB57_4:
	s_add_u32 s0, s2, s4
	s_addc_u32 s1, s3, 0
	v_mov_b32_e32 v1, s1
	v_add_co_u32_e32 v0, vcc, s0, v0
	v_addc_co_u32_e32 v1, vcc, 0, v1, vcc
	global_store_byte v[0:1], v2, off
	global_store_byte v[0:1], v3, off offset:256
	global_store_byte v[0:1], v4, off offset:512
	s_endpgm
	.section	.rodata,"a",@progbits
	.p2align	6, 0x0
	.amdhsa_kernel _Z6kernelI10flag_tailsaLj256ELj3ELb1ELj100EEvPKT0_PS1_
		.amdhsa_group_segment_fixed_size 512
		.amdhsa_private_segment_fixed_size 0
		.amdhsa_kernarg_size 16
		.amdhsa_user_sgpr_count 6
		.amdhsa_user_sgpr_private_segment_buffer 1
		.amdhsa_user_sgpr_dispatch_ptr 0
		.amdhsa_user_sgpr_queue_ptr 0
		.amdhsa_user_sgpr_kernarg_segment_ptr 1
		.amdhsa_user_sgpr_dispatch_id 0
		.amdhsa_user_sgpr_flat_scratch_init 0
		.amdhsa_user_sgpr_private_segment_size 0
		.amdhsa_uses_dynamic_stack 0
		.amdhsa_system_sgpr_private_segment_wavefront_offset 0
		.amdhsa_system_sgpr_workgroup_id_x 1
		.amdhsa_system_sgpr_workgroup_id_y 0
		.amdhsa_system_sgpr_workgroup_id_z 0
		.amdhsa_system_sgpr_workgroup_info 0
		.amdhsa_system_vgpr_workitem_id 0
		.amdhsa_next_free_vgpr 7
		.amdhsa_next_free_sgpr 7
		.amdhsa_reserve_vcc 1
		.amdhsa_reserve_flat_scratch 0
		.amdhsa_float_round_mode_32 0
		.amdhsa_float_round_mode_16_64 0
		.amdhsa_float_denorm_mode_32 3
		.amdhsa_float_denorm_mode_16_64 3
		.amdhsa_dx10_clamp 1
		.amdhsa_ieee_mode 1
		.amdhsa_fp16_overflow 0
		.amdhsa_exception_fp_ieee_invalid_op 0
		.amdhsa_exception_fp_denorm_src 0
		.amdhsa_exception_fp_ieee_div_zero 0
		.amdhsa_exception_fp_ieee_overflow 0
		.amdhsa_exception_fp_ieee_underflow 0
		.amdhsa_exception_fp_ieee_inexact 0
		.amdhsa_exception_int_div_zero 0
	.end_amdhsa_kernel
	.section	.text._Z6kernelI10flag_tailsaLj256ELj3ELb1ELj100EEvPKT0_PS1_,"axG",@progbits,_Z6kernelI10flag_tailsaLj256ELj3ELb1ELj100EEvPKT0_PS1_,comdat
.Lfunc_end57:
	.size	_Z6kernelI10flag_tailsaLj256ELj3ELb1ELj100EEvPKT0_PS1_, .Lfunc_end57-_Z6kernelI10flag_tailsaLj256ELj3ELb1ELj100EEvPKT0_PS1_
                                        ; -- End function
	.set _Z6kernelI10flag_tailsaLj256ELj3ELb1ELj100EEvPKT0_PS1_.num_vgpr, 7
	.set _Z6kernelI10flag_tailsaLj256ELj3ELb1ELj100EEvPKT0_PS1_.num_agpr, 0
	.set _Z6kernelI10flag_tailsaLj256ELj3ELb1ELj100EEvPKT0_PS1_.numbered_sgpr, 7
	.set _Z6kernelI10flag_tailsaLj256ELj3ELb1ELj100EEvPKT0_PS1_.num_named_barrier, 0
	.set _Z6kernelI10flag_tailsaLj256ELj3ELb1ELj100EEvPKT0_PS1_.private_seg_size, 0
	.set _Z6kernelI10flag_tailsaLj256ELj3ELb1ELj100EEvPKT0_PS1_.uses_vcc, 1
	.set _Z6kernelI10flag_tailsaLj256ELj3ELb1ELj100EEvPKT0_PS1_.uses_flat_scratch, 0
	.set _Z6kernelI10flag_tailsaLj256ELj3ELb1ELj100EEvPKT0_PS1_.has_dyn_sized_stack, 0
	.set _Z6kernelI10flag_tailsaLj256ELj3ELb1ELj100EEvPKT0_PS1_.has_recursion, 0
	.set _Z6kernelI10flag_tailsaLj256ELj3ELb1ELj100EEvPKT0_PS1_.has_indirect_call, 0
	.section	.AMDGPU.csdata,"",@progbits
; Kernel info:
; codeLenInByte = 320
; TotalNumSgprs: 11
; NumVgprs: 7
; ScratchSize: 0
; MemoryBound: 0
; FloatMode: 240
; IeeeMode: 1
; LDSByteSize: 512 bytes/workgroup (compile time only)
; SGPRBlocks: 1
; VGPRBlocks: 1
; NumSGPRsForWavesPerEU: 11
; NumVGPRsForWavesPerEU: 7
; Occupancy: 10
; WaveLimiterHint : 1
; COMPUTE_PGM_RSRC2:SCRATCH_EN: 0
; COMPUTE_PGM_RSRC2:USER_SGPR: 6
; COMPUTE_PGM_RSRC2:TRAP_HANDLER: 0
; COMPUTE_PGM_RSRC2:TGID_X_EN: 1
; COMPUTE_PGM_RSRC2:TGID_Y_EN: 0
; COMPUTE_PGM_RSRC2:TGID_Z_EN: 0
; COMPUTE_PGM_RSRC2:TIDIG_COMP_CNT: 0
	.section	.text._Z6kernelI10flag_tailsaLj256ELj4ELb1ELj100EEvPKT0_PS1_,"axG",@progbits,_Z6kernelI10flag_tailsaLj256ELj4ELb1ELj100EEvPKT0_PS1_,comdat
	.protected	_Z6kernelI10flag_tailsaLj256ELj4ELb1ELj100EEvPKT0_PS1_ ; -- Begin function _Z6kernelI10flag_tailsaLj256ELj4ELb1ELj100EEvPKT0_PS1_
	.globl	_Z6kernelI10flag_tailsaLj256ELj4ELb1ELj100EEvPKT0_PS1_
	.p2align	8
	.type	_Z6kernelI10flag_tailsaLj256ELj4ELb1ELj100EEvPKT0_PS1_,@function
_Z6kernelI10flag_tailsaLj256ELj4ELb1ELj100EEvPKT0_PS1_: ; @_Z6kernelI10flag_tailsaLj256ELj4ELb1ELj100EEvPKT0_PS1_
; %bb.0:
	s_load_dwordx4 s[0:3], s[4:5], 0x0
	s_lshl_b32 s4, s6, 10
	s_movk_i32 s5, 0xff
	v_cmp_ne_u32_e32 vcc, s5, v0
	s_movk_i32 s6, 0x64
	s_waitcnt lgkmcnt(0)
	s_add_u32 s0, s0, s4
	s_addc_u32 s1, s1, 0
	global_load_ubyte v1, v0, s[0:1] offset:256
	global_load_ubyte v2, v0, s[0:1] offset:512
	global_load_ubyte v3, v0, s[0:1]
	global_load_ubyte v4, v0, s[0:1] offset:768
	s_mov_b32 s0, 0xc0c0004
	s_waitcnt vmcnt(1)
	v_perm_b32 v1, v3, v1, s0
	s_waitcnt vmcnt(0)
	v_perm_b32 v2, v2, v4, s0
	v_lshl_or_b32 v1, v2, 16, v1
	s_branch .LBB58_2
.LBB58_1:                               ;   in Loop: Header=BB58_2 Depth=1
	s_or_b64 exec, exec, s[0:1]
	v_lshrrev_b32_e32 v3, 8, v1
	v_cmp_eq_u16_sdwa s[0:1], v1, v3 src0_sel:BYTE_0 src1_sel:BYTE_0
	v_and_b32_sdwa v5, v1, s5 dst_sel:DWORD dst_unused:UNUSED_PAD src0_sel:WORD_1 src1_sel:DWORD
	v_cndmask_b32_e64 v4, 0, 1, s[0:1]
	v_cmp_eq_u16_sdwa s[0:1], v3, v5 src0_sel:BYTE_0 src1_sel:DWORD
	v_cndmask_b32_e64 v6, 0, 1, s[0:1]
	v_cmp_eq_u16_sdwa s[0:1], v5, v1 src0_sel:DWORD src1_sel:BYTE_3
	v_cndmask_b32_e64 v5, 0, 1, s[0:1]
	s_waitcnt lgkmcnt(0)
	v_cmp_eq_u16_sdwa s[0:1], v1, v2 src0_sel:BYTE_3 src1_sel:BYTE_0
	v_cndmask_b32_e64 v7, 0, 1, s[0:1]
	v_add_u16_e32 v2, v1, v4
	v_add_u16_e32 v3, v3, v6
	v_add_u16_sdwa v4, v1, v5 dst_sel:DWORD dst_unused:UNUSED_PAD src0_sel:WORD_1 src1_sel:DWORD
	v_add_u16_sdwa v5, v1, v7 dst_sel:DWORD dst_unused:UNUSED_PAD src0_sel:BYTE_3 src1_sel:DWORD
	v_lshlrev_b16_e32 v1, 8, v3
	v_lshlrev_b16_e32 v6, 8, v5
	v_or_b32_sdwa v1, v2, v1 dst_sel:DWORD dst_unused:UNUSED_PAD src0_sel:BYTE_0 src1_sel:DWORD
	v_or_b32_sdwa v6, v4, v6 dst_sel:WORD_1 dst_unused:UNUSED_PAD src0_sel:BYTE_0 src1_sel:DWORD
	s_add_i32 s6, s6, -1
	v_or_b32_sdwa v1, v1, v6 dst_sel:DWORD dst_unused:UNUSED_PAD src0_sel:WORD_0 src1_sel:DWORD
	s_cmp_lg_u32 s6, 0
	s_barrier
	s_cbranch_scc0 .LBB58_4
.LBB58_2:                               ; =>This Inner Loop Header: Depth=1
	v_mov_b32_e32 v2, 0x7b
	ds_write_b8 v0, v1 offset:256
	s_waitcnt lgkmcnt(0)
	s_barrier
	s_and_saveexec_b64 s[0:1], vcc
	s_cbranch_execz .LBB58_1
; %bb.3:                                ;   in Loop: Header=BB58_2 Depth=1
	ds_read_u8 v2, v0 offset:257
	s_branch .LBB58_1
.LBB58_4:
	s_add_u32 s0, s2, s4
	s_addc_u32 s1, s3, 0
	v_mov_b32_e32 v1, s1
	v_add_co_u32_e32 v0, vcc, s0, v0
	v_addc_co_u32_e32 v1, vcc, 0, v1, vcc
	global_store_byte v[0:1], v2, off
	global_store_byte v[0:1], v3, off offset:256
	global_store_byte v[0:1], v4, off offset:512
	;; [unrolled: 1-line block ×3, first 2 shown]
	s_endpgm
	.section	.rodata,"a",@progbits
	.p2align	6, 0x0
	.amdhsa_kernel _Z6kernelI10flag_tailsaLj256ELj4ELb1ELj100EEvPKT0_PS1_
		.amdhsa_group_segment_fixed_size 512
		.amdhsa_private_segment_fixed_size 0
		.amdhsa_kernarg_size 16
		.amdhsa_user_sgpr_count 6
		.amdhsa_user_sgpr_private_segment_buffer 1
		.amdhsa_user_sgpr_dispatch_ptr 0
		.amdhsa_user_sgpr_queue_ptr 0
		.amdhsa_user_sgpr_kernarg_segment_ptr 1
		.amdhsa_user_sgpr_dispatch_id 0
		.amdhsa_user_sgpr_flat_scratch_init 0
		.amdhsa_user_sgpr_private_segment_size 0
		.amdhsa_uses_dynamic_stack 0
		.amdhsa_system_sgpr_private_segment_wavefront_offset 0
		.amdhsa_system_sgpr_workgroup_id_x 1
		.amdhsa_system_sgpr_workgroup_id_y 0
		.amdhsa_system_sgpr_workgroup_id_z 0
		.amdhsa_system_sgpr_workgroup_info 0
		.amdhsa_system_vgpr_workitem_id 0
		.amdhsa_next_free_vgpr 8
		.amdhsa_next_free_sgpr 7
		.amdhsa_reserve_vcc 1
		.amdhsa_reserve_flat_scratch 0
		.amdhsa_float_round_mode_32 0
		.amdhsa_float_round_mode_16_64 0
		.amdhsa_float_denorm_mode_32 3
		.amdhsa_float_denorm_mode_16_64 3
		.amdhsa_dx10_clamp 1
		.amdhsa_ieee_mode 1
		.amdhsa_fp16_overflow 0
		.amdhsa_exception_fp_ieee_invalid_op 0
		.amdhsa_exception_fp_denorm_src 0
		.amdhsa_exception_fp_ieee_div_zero 0
		.amdhsa_exception_fp_ieee_overflow 0
		.amdhsa_exception_fp_ieee_underflow 0
		.amdhsa_exception_fp_ieee_inexact 0
		.amdhsa_exception_int_div_zero 0
	.end_amdhsa_kernel
	.section	.text._Z6kernelI10flag_tailsaLj256ELj4ELb1ELj100EEvPKT0_PS1_,"axG",@progbits,_Z6kernelI10flag_tailsaLj256ELj4ELb1ELj100EEvPKT0_PS1_,comdat
.Lfunc_end58:
	.size	_Z6kernelI10flag_tailsaLj256ELj4ELb1ELj100EEvPKT0_PS1_, .Lfunc_end58-_Z6kernelI10flag_tailsaLj256ELj4ELb1ELj100EEvPKT0_PS1_
                                        ; -- End function
	.set _Z6kernelI10flag_tailsaLj256ELj4ELb1ELj100EEvPKT0_PS1_.num_vgpr, 8
	.set _Z6kernelI10flag_tailsaLj256ELj4ELb1ELj100EEvPKT0_PS1_.num_agpr, 0
	.set _Z6kernelI10flag_tailsaLj256ELj4ELb1ELj100EEvPKT0_PS1_.numbered_sgpr, 7
	.set _Z6kernelI10flag_tailsaLj256ELj4ELb1ELj100EEvPKT0_PS1_.num_named_barrier, 0
	.set _Z6kernelI10flag_tailsaLj256ELj4ELb1ELj100EEvPKT0_PS1_.private_seg_size, 0
	.set _Z6kernelI10flag_tailsaLj256ELj4ELb1ELj100EEvPKT0_PS1_.uses_vcc, 1
	.set _Z6kernelI10flag_tailsaLj256ELj4ELb1ELj100EEvPKT0_PS1_.uses_flat_scratch, 0
	.set _Z6kernelI10flag_tailsaLj256ELj4ELb1ELj100EEvPKT0_PS1_.has_dyn_sized_stack, 0
	.set _Z6kernelI10flag_tailsaLj256ELj4ELb1ELj100EEvPKT0_PS1_.has_recursion, 0
	.set _Z6kernelI10flag_tailsaLj256ELj4ELb1ELj100EEvPKT0_PS1_.has_indirect_call, 0
	.section	.AMDGPU.csdata,"",@progbits
; Kernel info:
; codeLenInByte = 368
; TotalNumSgprs: 11
; NumVgprs: 8
; ScratchSize: 0
; MemoryBound: 0
; FloatMode: 240
; IeeeMode: 1
; LDSByteSize: 512 bytes/workgroup (compile time only)
; SGPRBlocks: 1
; VGPRBlocks: 1
; NumSGPRsForWavesPerEU: 11
; NumVGPRsForWavesPerEU: 8
; Occupancy: 10
; WaveLimiterHint : 1
; COMPUTE_PGM_RSRC2:SCRATCH_EN: 0
; COMPUTE_PGM_RSRC2:USER_SGPR: 6
; COMPUTE_PGM_RSRC2:TRAP_HANDLER: 0
; COMPUTE_PGM_RSRC2:TGID_X_EN: 1
; COMPUTE_PGM_RSRC2:TGID_Y_EN: 0
; COMPUTE_PGM_RSRC2:TGID_Z_EN: 0
; COMPUTE_PGM_RSRC2:TIDIG_COMP_CNT: 0
	.section	.text._Z6kernelI10flag_tailsaLj256ELj8ELb1ELj100EEvPKT0_PS1_,"axG",@progbits,_Z6kernelI10flag_tailsaLj256ELj8ELb1ELj100EEvPKT0_PS1_,comdat
	.protected	_Z6kernelI10flag_tailsaLj256ELj8ELb1ELj100EEvPKT0_PS1_ ; -- Begin function _Z6kernelI10flag_tailsaLj256ELj8ELb1ELj100EEvPKT0_PS1_
	.globl	_Z6kernelI10flag_tailsaLj256ELj8ELb1ELj100EEvPKT0_PS1_
	.p2align	8
	.type	_Z6kernelI10flag_tailsaLj256ELj8ELb1ELj100EEvPKT0_PS1_,@function
_Z6kernelI10flag_tailsaLj256ELj8ELb1ELj100EEvPKT0_PS1_: ; @_Z6kernelI10flag_tailsaLj256ELj8ELb1ELj100EEvPKT0_PS1_
; %bb.0:
	s_load_dwordx4 s[0:3], s[4:5], 0x0
	s_lshl_b32 s4, s6, 11
	s_movk_i32 s5, 0xff
	v_cmp_ne_u32_e32 vcc, s5, v0
	s_movk_i32 s6, 0x64
	s_waitcnt lgkmcnt(0)
	s_add_u32 s0, s0, s4
	s_addc_u32 s1, s1, 0
	global_load_ubyte v1, v0, s[0:1] offset:256
	global_load_ubyte v2, v0, s[0:1] offset:1536
	;; [unrolled: 1-line block ×4, first 2 shown]
	global_load_ubyte v5, v0, s[0:1]
	global_load_ubyte v6, v0, s[0:1] offset:768
	global_load_ubyte v7, v0, s[0:1] offset:1280
	;; [unrolled: 1-line block ×3, first 2 shown]
	s_mov_b32 s0, 0xc0c0004
	s_waitcnt vmcnt(3)
	v_perm_b32 v1, v5, v1, s0
	s_waitcnt vmcnt(2)
	v_perm_b32 v4, v4, v6, s0
	;; [unrolled: 2-line block ×4, first 2 shown]
	v_lshl_or_b32 v1, v4, 16, v1
	v_lshl_or_b32 v2, v2, 16, v3
	s_branch .LBB59_2
.LBB59_1:                               ;   in Loop: Header=BB59_2 Depth=1
	s_or_b64 exec, exec, s[0:1]
	v_lshrrev_b32_e32 v4, 8, v1
	v_lshrrev_b64 v[6:7], 24, v[1:2]
	v_and_b32_sdwa v7, v1, s5 dst_sel:DWORD dst_unused:UNUSED_PAD src0_sel:WORD_1 src1_sel:DWORD
	v_cmp_eq_u16_sdwa s[0:1], v1, v4 src0_sel:BYTE_0 src1_sel:BYTE_0
	v_cndmask_b32_e64 v9, 0, 1, s[0:1]
	v_cmp_eq_u16_sdwa s[0:1], v4, v7 src0_sel:BYTE_0 src1_sel:DWORD
	v_cndmask_b32_e64 v10, 0, 1, s[0:1]
	v_cmp_eq_u16_sdwa s[0:1], v7, v6 src0_sel:DWORD src1_sel:BYTE_0
	v_lshrrev_b32_e32 v8, 8, v2
	v_cndmask_b32_e64 v7, 0, 1, s[0:1]
	v_cmp_eq_u16_sdwa s[0:1], v6, v2 src0_sel:BYTE_0 src1_sel:BYTE_0
	v_and_b32_sdwa v5, v2, s5 dst_sel:DWORD dst_unused:UNUSED_PAD src0_sel:WORD_1 src1_sel:DWORD
	v_cndmask_b32_e64 v11, 0, 1, s[0:1]
	v_cmp_eq_u16_sdwa s[0:1], v2, v8 src0_sel:BYTE_0 src1_sel:BYTE_0
	v_cndmask_b32_e64 v12, 0, 1, s[0:1]
	v_cmp_eq_u16_sdwa s[0:1], v8, v5 src0_sel:BYTE_0 src1_sel:DWORD
	v_cndmask_b32_e64 v13, 0, 1, s[0:1]
	v_cmp_eq_u16_sdwa s[0:1], v5, v2 src0_sel:DWORD src1_sel:BYTE_3
	v_cndmask_b32_e64 v14, 0, 1, s[0:1]
	s_waitcnt lgkmcnt(0)
	v_cmp_eq_u16_sdwa s[0:1], v2, v3 src0_sel:BYTE_3 src1_sel:BYTE_0
	v_cndmask_b32_e64 v15, 0, 1, s[0:1]
	v_add_u16_e32 v4, v4, v10
	v_add_u16_e32 v6, v6, v11
	;; [unrolled: 1-line block ×3, first 2 shown]
	v_add_u16_sdwa v5, v1, v7 dst_sel:DWORD dst_unused:UNUSED_PAD src0_sel:WORD_1 src1_sel:DWORD
	v_add_u16_e32 v7, v2, v12
	v_add_u16_sdwa v9, v2, v14 dst_sel:DWORD dst_unused:UNUSED_PAD src0_sel:WORD_1 src1_sel:DWORD
	v_add_u16_sdwa v10, v2, v15 dst_sel:DWORD dst_unused:UNUSED_PAD src0_sel:BYTE_3 src1_sel:DWORD
	v_lshlrev_b16_e32 v1, 8, v4
	v_lshlrev_b16_e32 v2, 8, v6
	v_add_u16_e32 v8, v8, v13
	v_or_b32_sdwa v1, v3, v1 dst_sel:DWORD dst_unused:UNUSED_PAD src0_sel:BYTE_0 src1_sel:DWORD
	v_or_b32_sdwa v2, v5, v2 dst_sel:WORD_1 dst_unused:UNUSED_PAD src0_sel:BYTE_0 src1_sel:DWORD
	v_or_b32_sdwa v1, v1, v2 dst_sel:DWORD dst_unused:UNUSED_PAD src0_sel:WORD_0 src1_sel:DWORD
	v_lshlrev_b16_e32 v2, 8, v8
	v_lshlrev_b16_e32 v11, 8, v10
	v_or_b32_sdwa v2, v7, v2 dst_sel:DWORD dst_unused:UNUSED_PAD src0_sel:BYTE_0 src1_sel:DWORD
	v_or_b32_sdwa v11, v9, v11 dst_sel:WORD_1 dst_unused:UNUSED_PAD src0_sel:BYTE_0 src1_sel:DWORD
	s_add_i32 s6, s6, -1
	s_cmp_lg_u32 s6, 0
	v_or_b32_sdwa v2, v2, v11 dst_sel:DWORD dst_unused:UNUSED_PAD src0_sel:WORD_0 src1_sel:DWORD
	s_barrier
	s_cbranch_scc0 .LBB59_4
.LBB59_2:                               ; =>This Inner Loop Header: Depth=1
	v_mov_b32_e32 v3, 0x7b
	ds_write_b8 v0, v1 offset:256
	s_waitcnt lgkmcnt(0)
	s_barrier
	s_and_saveexec_b64 s[0:1], vcc
	s_cbranch_execz .LBB59_1
; %bb.3:                                ;   in Loop: Header=BB59_2 Depth=1
	ds_read_u8 v3, v0 offset:257
	s_branch .LBB59_1
.LBB59_4:
	s_add_u32 s0, s2, s4
	s_addc_u32 s1, s3, 0
	v_mov_b32_e32 v1, s1
	v_add_co_u32_e32 v0, vcc, s0, v0
	v_addc_co_u32_e32 v1, vcc, 0, v1, vcc
	global_store_byte v[0:1], v3, off
	global_store_byte v[0:1], v4, off offset:256
	global_store_byte v[0:1], v5, off offset:512
	;; [unrolled: 1-line block ×7, first 2 shown]
	s_endpgm
	.section	.rodata,"a",@progbits
	.p2align	6, 0x0
	.amdhsa_kernel _Z6kernelI10flag_tailsaLj256ELj8ELb1ELj100EEvPKT0_PS1_
		.amdhsa_group_segment_fixed_size 512
		.amdhsa_private_segment_fixed_size 0
		.amdhsa_kernarg_size 16
		.amdhsa_user_sgpr_count 6
		.amdhsa_user_sgpr_private_segment_buffer 1
		.amdhsa_user_sgpr_dispatch_ptr 0
		.amdhsa_user_sgpr_queue_ptr 0
		.amdhsa_user_sgpr_kernarg_segment_ptr 1
		.amdhsa_user_sgpr_dispatch_id 0
		.amdhsa_user_sgpr_flat_scratch_init 0
		.amdhsa_user_sgpr_private_segment_size 0
		.amdhsa_uses_dynamic_stack 0
		.amdhsa_system_sgpr_private_segment_wavefront_offset 0
		.amdhsa_system_sgpr_workgroup_id_x 1
		.amdhsa_system_sgpr_workgroup_id_y 0
		.amdhsa_system_sgpr_workgroup_id_z 0
		.amdhsa_system_sgpr_workgroup_info 0
		.amdhsa_system_vgpr_workitem_id 0
		.amdhsa_next_free_vgpr 16
		.amdhsa_next_free_sgpr 7
		.amdhsa_reserve_vcc 1
		.amdhsa_reserve_flat_scratch 0
		.amdhsa_float_round_mode_32 0
		.amdhsa_float_round_mode_16_64 0
		.amdhsa_float_denorm_mode_32 3
		.amdhsa_float_denorm_mode_16_64 3
		.amdhsa_dx10_clamp 1
		.amdhsa_ieee_mode 1
		.amdhsa_fp16_overflow 0
		.amdhsa_exception_fp_ieee_invalid_op 0
		.amdhsa_exception_fp_denorm_src 0
		.amdhsa_exception_fp_ieee_div_zero 0
		.amdhsa_exception_fp_ieee_overflow 0
		.amdhsa_exception_fp_ieee_underflow 0
		.amdhsa_exception_fp_ieee_inexact 0
		.amdhsa_exception_int_div_zero 0
	.end_amdhsa_kernel
	.section	.text._Z6kernelI10flag_tailsaLj256ELj8ELb1ELj100EEvPKT0_PS1_,"axG",@progbits,_Z6kernelI10flag_tailsaLj256ELj8ELb1ELj100EEvPKT0_PS1_,comdat
.Lfunc_end59:
	.size	_Z6kernelI10flag_tailsaLj256ELj8ELb1ELj100EEvPKT0_PS1_, .Lfunc_end59-_Z6kernelI10flag_tailsaLj256ELj8ELb1ELj100EEvPKT0_PS1_
                                        ; -- End function
	.set _Z6kernelI10flag_tailsaLj256ELj8ELb1ELj100EEvPKT0_PS1_.num_vgpr, 16
	.set _Z6kernelI10flag_tailsaLj256ELj8ELb1ELj100EEvPKT0_PS1_.num_agpr, 0
	.set _Z6kernelI10flag_tailsaLj256ELj8ELb1ELj100EEvPKT0_PS1_.numbered_sgpr, 7
	.set _Z6kernelI10flag_tailsaLj256ELj8ELb1ELj100EEvPKT0_PS1_.num_named_barrier, 0
	.set _Z6kernelI10flag_tailsaLj256ELj8ELb1ELj100EEvPKT0_PS1_.private_seg_size, 0
	.set _Z6kernelI10flag_tailsaLj256ELj8ELb1ELj100EEvPKT0_PS1_.uses_vcc, 1
	.set _Z6kernelI10flag_tailsaLj256ELj8ELb1ELj100EEvPKT0_PS1_.uses_flat_scratch, 0
	.set _Z6kernelI10flag_tailsaLj256ELj8ELb1ELj100EEvPKT0_PS1_.has_dyn_sized_stack, 0
	.set _Z6kernelI10flag_tailsaLj256ELj8ELb1ELj100EEvPKT0_PS1_.has_recursion, 0
	.set _Z6kernelI10flag_tailsaLj256ELj8ELb1ELj100EEvPKT0_PS1_.has_indirect_call, 0
	.section	.AMDGPU.csdata,"",@progbits
; Kernel info:
; codeLenInByte = 600
; TotalNumSgprs: 11
; NumVgprs: 16
; ScratchSize: 0
; MemoryBound: 0
; FloatMode: 240
; IeeeMode: 1
; LDSByteSize: 512 bytes/workgroup (compile time only)
; SGPRBlocks: 1
; VGPRBlocks: 3
; NumSGPRsForWavesPerEU: 11
; NumVGPRsForWavesPerEU: 16
; Occupancy: 10
; WaveLimiterHint : 1
; COMPUTE_PGM_RSRC2:SCRATCH_EN: 0
; COMPUTE_PGM_RSRC2:USER_SGPR: 6
; COMPUTE_PGM_RSRC2:TRAP_HANDLER: 0
; COMPUTE_PGM_RSRC2:TGID_X_EN: 1
; COMPUTE_PGM_RSRC2:TGID_Y_EN: 0
; COMPUTE_PGM_RSRC2:TGID_Z_EN: 0
; COMPUTE_PGM_RSRC2:TIDIG_COMP_CNT: 0
	.section	.text._Z6kernelI10flag_tailshLj256ELj1ELb0ELj100EEvPKT0_PS1_,"axG",@progbits,_Z6kernelI10flag_tailshLj256ELj1ELb0ELj100EEvPKT0_PS1_,comdat
	.protected	_Z6kernelI10flag_tailshLj256ELj1ELb0ELj100EEvPKT0_PS1_ ; -- Begin function _Z6kernelI10flag_tailshLj256ELj1ELb0ELj100EEvPKT0_PS1_
	.globl	_Z6kernelI10flag_tailshLj256ELj1ELb0ELj100EEvPKT0_PS1_
	.p2align	8
	.type	_Z6kernelI10flag_tailshLj256ELj1ELb0ELj100EEvPKT0_PS1_,@function
_Z6kernelI10flag_tailshLj256ELj1ELb0ELj100EEvPKT0_PS1_: ; @_Z6kernelI10flag_tailshLj256ELj1ELb0ELj100EEvPKT0_PS1_
; %bb.0:
	s_load_dwordx4 s[0:3], s[4:5], 0x0
	s_lshl_b32 s4, s6, 8
	s_movk_i32 s5, 0x64
	s_waitcnt lgkmcnt(0)
	s_add_u32 s0, s0, s4
	s_addc_u32 s1, s1, 0
	global_load_ubyte v1, v0, s[0:1]
	s_movk_i32 s0, 0xff
	v_cmp_ne_u32_e32 vcc, s0, v0
	s_branch .LBB60_2
.LBB60_1:                               ;   in Loop: Header=BB60_2 Depth=1
	s_or_b64 exec, exec, s[0:1]
	s_add_i32 s5, s5, -1
	v_add_u16_e32 v1, v2, v1
	s_cmp_lg_u32 s5, 0
	s_barrier
	s_cbranch_scc0 .LBB60_4
.LBB60_2:                               ; =>This Inner Loop Header: Depth=1
	v_mov_b32_e32 v2, 1
	s_waitcnt vmcnt(0)
	ds_write_b8 v0, v1 offset:256
	s_waitcnt lgkmcnt(0)
	s_barrier
	s_and_saveexec_b64 s[0:1], vcc
	s_cbranch_execz .LBB60_1
; %bb.3:                                ;   in Loop: Header=BB60_2 Depth=1
	ds_read_u8 v2, v0 offset:257
	s_waitcnt lgkmcnt(0)
	v_cmp_eq_u16_sdwa s[6:7], v1, v2 src0_sel:BYTE_0 src1_sel:DWORD
	v_cndmask_b32_e64 v2, 0, 1, s[6:7]
	s_branch .LBB60_1
.LBB60_4:
	s_add_u32 s0, s2, s4
	s_addc_u32 s1, s3, 0
	v_mov_b32_e32 v3, s1
	v_add_co_u32_e32 v2, vcc, s0, v0
	v_addc_co_u32_e32 v3, vcc, 0, v3, vcc
	global_store_byte v[2:3], v1, off
	s_endpgm
	.section	.rodata,"a",@progbits
	.p2align	6, 0x0
	.amdhsa_kernel _Z6kernelI10flag_tailshLj256ELj1ELb0ELj100EEvPKT0_PS1_
		.amdhsa_group_segment_fixed_size 512
		.amdhsa_private_segment_fixed_size 0
		.amdhsa_kernarg_size 16
		.amdhsa_user_sgpr_count 6
		.amdhsa_user_sgpr_private_segment_buffer 1
		.amdhsa_user_sgpr_dispatch_ptr 0
		.amdhsa_user_sgpr_queue_ptr 0
		.amdhsa_user_sgpr_kernarg_segment_ptr 1
		.amdhsa_user_sgpr_dispatch_id 0
		.amdhsa_user_sgpr_flat_scratch_init 0
		.amdhsa_user_sgpr_private_segment_size 0
		.amdhsa_uses_dynamic_stack 0
		.amdhsa_system_sgpr_private_segment_wavefront_offset 0
		.amdhsa_system_sgpr_workgroup_id_x 1
		.amdhsa_system_sgpr_workgroup_id_y 0
		.amdhsa_system_sgpr_workgroup_id_z 0
		.amdhsa_system_sgpr_workgroup_info 0
		.amdhsa_system_vgpr_workitem_id 0
		.amdhsa_next_free_vgpr 4
		.amdhsa_next_free_sgpr 8
		.amdhsa_reserve_vcc 1
		.amdhsa_reserve_flat_scratch 0
		.amdhsa_float_round_mode_32 0
		.amdhsa_float_round_mode_16_64 0
		.amdhsa_float_denorm_mode_32 3
		.amdhsa_float_denorm_mode_16_64 3
		.amdhsa_dx10_clamp 1
		.amdhsa_ieee_mode 1
		.amdhsa_fp16_overflow 0
		.amdhsa_exception_fp_ieee_invalid_op 0
		.amdhsa_exception_fp_denorm_src 0
		.amdhsa_exception_fp_ieee_div_zero 0
		.amdhsa_exception_fp_ieee_overflow 0
		.amdhsa_exception_fp_ieee_underflow 0
		.amdhsa_exception_fp_ieee_inexact 0
		.amdhsa_exception_int_div_zero 0
	.end_amdhsa_kernel
	.section	.text._Z6kernelI10flag_tailshLj256ELj1ELb0ELj100EEvPKT0_PS1_,"axG",@progbits,_Z6kernelI10flag_tailshLj256ELj1ELb0ELj100EEvPKT0_PS1_,comdat
.Lfunc_end60:
	.size	_Z6kernelI10flag_tailshLj256ELj1ELb0ELj100EEvPKT0_PS1_, .Lfunc_end60-_Z6kernelI10flag_tailshLj256ELj1ELb0ELj100EEvPKT0_PS1_
                                        ; -- End function
	.set _Z6kernelI10flag_tailshLj256ELj1ELb0ELj100EEvPKT0_PS1_.num_vgpr, 4
	.set _Z6kernelI10flag_tailshLj256ELj1ELb0ELj100EEvPKT0_PS1_.num_agpr, 0
	.set _Z6kernelI10flag_tailshLj256ELj1ELb0ELj100EEvPKT0_PS1_.numbered_sgpr, 8
	.set _Z6kernelI10flag_tailshLj256ELj1ELb0ELj100EEvPKT0_PS1_.num_named_barrier, 0
	.set _Z6kernelI10flag_tailshLj256ELj1ELb0ELj100EEvPKT0_PS1_.private_seg_size, 0
	.set _Z6kernelI10flag_tailshLj256ELj1ELb0ELj100EEvPKT0_PS1_.uses_vcc, 1
	.set _Z6kernelI10flag_tailshLj256ELj1ELb0ELj100EEvPKT0_PS1_.uses_flat_scratch, 0
	.set _Z6kernelI10flag_tailshLj256ELj1ELb0ELj100EEvPKT0_PS1_.has_dyn_sized_stack, 0
	.set _Z6kernelI10flag_tailshLj256ELj1ELb0ELj100EEvPKT0_PS1_.has_recursion, 0
	.set _Z6kernelI10flag_tailshLj256ELj1ELb0ELj100EEvPKT0_PS1_.has_indirect_call, 0
	.section	.AMDGPU.csdata,"",@progbits
; Kernel info:
; codeLenInByte = 168
; TotalNumSgprs: 12
; NumVgprs: 4
; ScratchSize: 0
; MemoryBound: 0
; FloatMode: 240
; IeeeMode: 1
; LDSByteSize: 512 bytes/workgroup (compile time only)
; SGPRBlocks: 1
; VGPRBlocks: 0
; NumSGPRsForWavesPerEU: 12
; NumVGPRsForWavesPerEU: 4
; Occupancy: 10
; WaveLimiterHint : 0
; COMPUTE_PGM_RSRC2:SCRATCH_EN: 0
; COMPUTE_PGM_RSRC2:USER_SGPR: 6
; COMPUTE_PGM_RSRC2:TRAP_HANDLER: 0
; COMPUTE_PGM_RSRC2:TGID_X_EN: 1
; COMPUTE_PGM_RSRC2:TGID_Y_EN: 0
; COMPUTE_PGM_RSRC2:TGID_Z_EN: 0
; COMPUTE_PGM_RSRC2:TIDIG_COMP_CNT: 0
	.section	.text._Z6kernelI10flag_tailshLj256ELj2ELb0ELj100EEvPKT0_PS1_,"axG",@progbits,_Z6kernelI10flag_tailshLj256ELj2ELb0ELj100EEvPKT0_PS1_,comdat
	.protected	_Z6kernelI10flag_tailshLj256ELj2ELb0ELj100EEvPKT0_PS1_ ; -- Begin function _Z6kernelI10flag_tailshLj256ELj2ELb0ELj100EEvPKT0_PS1_
	.globl	_Z6kernelI10flag_tailshLj256ELj2ELb0ELj100EEvPKT0_PS1_
	.p2align	8
	.type	_Z6kernelI10flag_tailshLj256ELj2ELb0ELj100EEvPKT0_PS1_,@function
_Z6kernelI10flag_tailshLj256ELj2ELb0ELj100EEvPKT0_PS1_: ; @_Z6kernelI10flag_tailshLj256ELj2ELb0ELj100EEvPKT0_PS1_
; %bb.0:
	s_load_dwordx4 s[0:3], s[4:5], 0x0
	s_lshl_b32 s6, s6, 9
	s_movk_i32 s7, 0x64
	s_waitcnt lgkmcnt(0)
	s_add_u32 s0, s0, s6
	s_addc_u32 s1, s1, 0
	global_load_ubyte v1, v0, s[0:1] offset:256
	global_load_ubyte v2, v0, s[0:1]
	s_mov_b32 s0, 0xc0c0004
	s_movk_i32 s1, 0xff
	v_cmp_ne_u32_e32 vcc, s1, v0
	s_waitcnt vmcnt(0)
	v_perm_b32 v1, v2, v1, s0
	s_branch .LBB61_2
.LBB61_1:                               ;   in Loop: Header=BB61_2 Depth=1
	s_or_b64 exec, exec, s[4:5]
	v_cndmask_b32_e64 v3, 0, 1, s[0:1]
	v_add_u16_e32 v3, v3, v1
	v_add_u16_sdwa v1, v2, v1 dst_sel:BYTE_1 dst_unused:UNUSED_PAD src0_sel:DWORD src1_sel:BYTE_1
	v_or_b32_sdwa v1, v3, v1 dst_sel:DWORD dst_unused:UNUSED_PAD src0_sel:BYTE_0 src1_sel:DWORD
	s_add_i32 s7, s7, -1
	v_and_b32_e32 v1, 0xffff, v1
	s_cmp_lg_u32 s7, 0
	s_barrier
	s_cbranch_scc0 .LBB61_4
.LBB61_2:                               ; =>This Inner Loop Header: Depth=1
	v_cmp_eq_u16_sdwa s[0:1], v1, v1 src0_sel:BYTE_0 src1_sel:BYTE_1
	v_mov_b32_e32 v2, 1
	ds_write_b8 v0, v1 offset:256
	s_waitcnt lgkmcnt(0)
	s_barrier
	s_and_saveexec_b64 s[4:5], vcc
	s_cbranch_execz .LBB61_1
; %bb.3:                                ;   in Loop: Header=BB61_2 Depth=1
	ds_read_u8 v2, v0 offset:257
	s_waitcnt lgkmcnt(0)
	v_cmp_eq_u16_sdwa s[8:9], v1, v2 src0_sel:BYTE_1 src1_sel:DWORD
	v_cndmask_b32_e64 v2, 0, 1, s[8:9]
	s_branch .LBB61_1
.LBB61_4:
	s_add_u32 s0, s2, s6
	s_addc_u32 s1, s3, 0
	v_mov_b32_e32 v3, s1
	v_add_co_u32_e32 v2, vcc, s0, v0
	v_addc_co_u32_e32 v3, vcc, 0, v3, vcc
	v_lshrrev_b16_e32 v0, 8, v1
	global_store_byte v[2:3], v1, off
	global_store_byte v[2:3], v0, off offset:256
	s_endpgm
	.section	.rodata,"a",@progbits
	.p2align	6, 0x0
	.amdhsa_kernel _Z6kernelI10flag_tailshLj256ELj2ELb0ELj100EEvPKT0_PS1_
		.amdhsa_group_segment_fixed_size 512
		.amdhsa_private_segment_fixed_size 0
		.amdhsa_kernarg_size 16
		.amdhsa_user_sgpr_count 6
		.amdhsa_user_sgpr_private_segment_buffer 1
		.amdhsa_user_sgpr_dispatch_ptr 0
		.amdhsa_user_sgpr_queue_ptr 0
		.amdhsa_user_sgpr_kernarg_segment_ptr 1
		.amdhsa_user_sgpr_dispatch_id 0
		.amdhsa_user_sgpr_flat_scratch_init 0
		.amdhsa_user_sgpr_private_segment_size 0
		.amdhsa_uses_dynamic_stack 0
		.amdhsa_system_sgpr_private_segment_wavefront_offset 0
		.amdhsa_system_sgpr_workgroup_id_x 1
		.amdhsa_system_sgpr_workgroup_id_y 0
		.amdhsa_system_sgpr_workgroup_id_z 0
		.amdhsa_system_sgpr_workgroup_info 0
		.amdhsa_system_vgpr_workitem_id 0
		.amdhsa_next_free_vgpr 4
		.amdhsa_next_free_sgpr 10
		.amdhsa_reserve_vcc 1
		.amdhsa_reserve_flat_scratch 0
		.amdhsa_float_round_mode_32 0
		.amdhsa_float_round_mode_16_64 0
		.amdhsa_float_denorm_mode_32 3
		.amdhsa_float_denorm_mode_16_64 3
		.amdhsa_dx10_clamp 1
		.amdhsa_ieee_mode 1
		.amdhsa_fp16_overflow 0
		.amdhsa_exception_fp_ieee_invalid_op 0
		.amdhsa_exception_fp_denorm_src 0
		.amdhsa_exception_fp_ieee_div_zero 0
		.amdhsa_exception_fp_ieee_overflow 0
		.amdhsa_exception_fp_ieee_underflow 0
		.amdhsa_exception_fp_ieee_inexact 0
		.amdhsa_exception_int_div_zero 0
	.end_amdhsa_kernel
	.section	.text._Z6kernelI10flag_tailshLj256ELj2ELb0ELj100EEvPKT0_PS1_,"axG",@progbits,_Z6kernelI10flag_tailshLj256ELj2ELb0ELj100EEvPKT0_PS1_,comdat
.Lfunc_end61:
	.size	_Z6kernelI10flag_tailshLj256ELj2ELb0ELj100EEvPKT0_PS1_, .Lfunc_end61-_Z6kernelI10flag_tailshLj256ELj2ELb0ELj100EEvPKT0_PS1_
                                        ; -- End function
	.set _Z6kernelI10flag_tailshLj256ELj2ELb0ELj100EEvPKT0_PS1_.num_vgpr, 4
	.set _Z6kernelI10flag_tailshLj256ELj2ELb0ELj100EEvPKT0_PS1_.num_agpr, 0
	.set _Z6kernelI10flag_tailshLj256ELj2ELb0ELj100EEvPKT0_PS1_.numbered_sgpr, 10
	.set _Z6kernelI10flag_tailshLj256ELj2ELb0ELj100EEvPKT0_PS1_.num_named_barrier, 0
	.set _Z6kernelI10flag_tailshLj256ELj2ELb0ELj100EEvPKT0_PS1_.private_seg_size, 0
	.set _Z6kernelI10flag_tailshLj256ELj2ELb0ELj100EEvPKT0_PS1_.uses_vcc, 1
	.set _Z6kernelI10flag_tailshLj256ELj2ELb0ELj100EEvPKT0_PS1_.uses_flat_scratch, 0
	.set _Z6kernelI10flag_tailshLj256ELj2ELb0ELj100EEvPKT0_PS1_.has_dyn_sized_stack, 0
	.set _Z6kernelI10flag_tailshLj256ELj2ELb0ELj100EEvPKT0_PS1_.has_recursion, 0
	.set _Z6kernelI10flag_tailshLj256ELj2ELb0ELj100EEvPKT0_PS1_.has_indirect_call, 0
	.section	.AMDGPU.csdata,"",@progbits
; Kernel info:
; codeLenInByte = 244
; TotalNumSgprs: 14
; NumVgprs: 4
; ScratchSize: 0
; MemoryBound: 0
; FloatMode: 240
; IeeeMode: 1
; LDSByteSize: 512 bytes/workgroup (compile time only)
; SGPRBlocks: 1
; VGPRBlocks: 0
; NumSGPRsForWavesPerEU: 14
; NumVGPRsForWavesPerEU: 4
; Occupancy: 10
; WaveLimiterHint : 1
; COMPUTE_PGM_RSRC2:SCRATCH_EN: 0
; COMPUTE_PGM_RSRC2:USER_SGPR: 6
; COMPUTE_PGM_RSRC2:TRAP_HANDLER: 0
; COMPUTE_PGM_RSRC2:TGID_X_EN: 1
; COMPUTE_PGM_RSRC2:TGID_Y_EN: 0
; COMPUTE_PGM_RSRC2:TGID_Z_EN: 0
; COMPUTE_PGM_RSRC2:TIDIG_COMP_CNT: 0
	.section	.text._Z6kernelI10flag_tailshLj256ELj3ELb0ELj100EEvPKT0_PS1_,"axG",@progbits,_Z6kernelI10flag_tailshLj256ELj3ELb0ELj100EEvPKT0_PS1_,comdat
	.protected	_Z6kernelI10flag_tailshLj256ELj3ELb0ELj100EEvPKT0_PS1_ ; -- Begin function _Z6kernelI10flag_tailshLj256ELj3ELb0ELj100EEvPKT0_PS1_
	.globl	_Z6kernelI10flag_tailshLj256ELj3ELb0ELj100EEvPKT0_PS1_
	.p2align	8
	.type	_Z6kernelI10flag_tailshLj256ELj3ELb0ELj100EEvPKT0_PS1_,@function
_Z6kernelI10flag_tailshLj256ELj3ELb0ELj100EEvPKT0_PS1_: ; @_Z6kernelI10flag_tailshLj256ELj3ELb0ELj100EEvPKT0_PS1_
; %bb.0:
	s_load_dwordx4 s[0:3], s[4:5], 0x0
	s_mul_i32 s10, s6, 0x300
	s_movk_i32 s11, 0xff
	s_movk_i32 s12, 0x64
	v_cmp_ne_u32_e32 vcc, s11, v0
	s_waitcnt lgkmcnt(0)
	s_add_u32 s0, s0, s10
	s_addc_u32 s1, s1, 0
	global_load_ubyte v1, v0, s[0:1] offset:256
	global_load_ubyte v2, v0, s[0:1] offset:512
	global_load_ubyte v3, v0, s[0:1]
	s_mov_b32 s0, 0xc0c0004
	s_mov_b32 s13, 0xc0c0104
	s_waitcnt vmcnt(0)
	v_perm_b32 v1, v3, v1, s0
	v_lshl_or_b32 v1, v2, 16, v1
	s_branch .LBB62_2
.LBB62_1:                               ;   in Loop: Header=BB62_2 Depth=1
	s_or_b64 exec, exec, s[8:9]
	v_cndmask_b32_e64 v4, 0, 1, s[6:7]
	v_cndmask_b32_e64 v5, 0, 1, s[4:5]
	v_add_u16_sdwa v2, v3, v1 dst_sel:DWORD dst_unused:UNUSED_PAD src0_sel:DWORD src1_sel:WORD_1
	v_and_b32_e32 v3, 0xff, v2
	v_add_u16_sdwa v4, v4, v1 dst_sel:BYTE_1 dst_unused:UNUSED_PAD src0_sel:DWORD src1_sel:BYTE_1
	v_add_u16_e32 v1, v5, v1
	v_perm_b32 v1, v1, v4, s13
	v_lshlrev_b32_e32 v3, 16, v3
	s_add_i32 s12, s12, -1
	v_or_b32_e32 v1, v1, v3
	s_cmp_lg_u32 s12, 0
	s_barrier
	s_cbranch_scc0 .LBB62_4
.LBB62_2:                               ; =>This Inner Loop Header: Depth=1
	v_lshrrev_b32_e32 v3, 8, v1
	v_and_b32_sdwa v2, v1, s11 dst_sel:DWORD dst_unused:UNUSED_PAD src0_sel:WORD_1 src1_sel:DWORD
	v_cmp_eq_u16_sdwa s[4:5], v1, v3 src0_sel:BYTE_0 src1_sel:BYTE_0
	v_cmp_eq_u16_sdwa s[6:7], v3, v2 src0_sel:BYTE_0 src1_sel:DWORD
	v_mov_b32_e32 v3, 1
	ds_write_b8 v0, v1 offset:256
	s_waitcnt lgkmcnt(0)
	s_barrier
	s_and_saveexec_b64 s[8:9], vcc
	s_cbranch_execz .LBB62_1
; %bb.3:                                ;   in Loop: Header=BB62_2 Depth=1
	ds_read_u8 v3, v0 offset:257
	s_waitcnt lgkmcnt(0)
	v_cmp_eq_u16_e64 s[0:1], v2, v3
	v_cndmask_b32_e64 v3, 0, 1, s[0:1]
	s_branch .LBB62_1
.LBB62_4:
	s_add_u32 s0, s2, s10
	s_addc_u32 s1, s3, 0
	v_mov_b32_e32 v4, s1
	v_add_co_u32_e32 v3, vcc, s0, v0
	v_addc_co_u32_e32 v4, vcc, 0, v4, vcc
	v_lshrrev_b32_e32 v0, 8, v1
	global_store_byte v[3:4], v1, off
	global_store_byte v[3:4], v0, off offset:256
	global_store_byte v[3:4], v2, off offset:512
	s_endpgm
	.section	.rodata,"a",@progbits
	.p2align	6, 0x0
	.amdhsa_kernel _Z6kernelI10flag_tailshLj256ELj3ELb0ELj100EEvPKT0_PS1_
		.amdhsa_group_segment_fixed_size 512
		.amdhsa_private_segment_fixed_size 0
		.amdhsa_kernarg_size 16
		.amdhsa_user_sgpr_count 6
		.amdhsa_user_sgpr_private_segment_buffer 1
		.amdhsa_user_sgpr_dispatch_ptr 0
		.amdhsa_user_sgpr_queue_ptr 0
		.amdhsa_user_sgpr_kernarg_segment_ptr 1
		.amdhsa_user_sgpr_dispatch_id 0
		.amdhsa_user_sgpr_flat_scratch_init 0
		.amdhsa_user_sgpr_private_segment_size 0
		.amdhsa_uses_dynamic_stack 0
		.amdhsa_system_sgpr_private_segment_wavefront_offset 0
		.amdhsa_system_sgpr_workgroup_id_x 1
		.amdhsa_system_sgpr_workgroup_id_y 0
		.amdhsa_system_sgpr_workgroup_id_z 0
		.amdhsa_system_sgpr_workgroup_info 0
		.amdhsa_system_vgpr_workitem_id 0
		.amdhsa_next_free_vgpr 6
		.amdhsa_next_free_sgpr 14
		.amdhsa_reserve_vcc 1
		.amdhsa_reserve_flat_scratch 0
		.amdhsa_float_round_mode_32 0
		.amdhsa_float_round_mode_16_64 0
		.amdhsa_float_denorm_mode_32 3
		.amdhsa_float_denorm_mode_16_64 3
		.amdhsa_dx10_clamp 1
		.amdhsa_ieee_mode 1
		.amdhsa_fp16_overflow 0
		.amdhsa_exception_fp_ieee_invalid_op 0
		.amdhsa_exception_fp_denorm_src 0
		.amdhsa_exception_fp_ieee_div_zero 0
		.amdhsa_exception_fp_ieee_overflow 0
		.amdhsa_exception_fp_ieee_underflow 0
		.amdhsa_exception_fp_ieee_inexact 0
		.amdhsa_exception_int_div_zero 0
	.end_amdhsa_kernel
	.section	.text._Z6kernelI10flag_tailshLj256ELj3ELb0ELj100EEvPKT0_PS1_,"axG",@progbits,_Z6kernelI10flag_tailshLj256ELj3ELb0ELj100EEvPKT0_PS1_,comdat
.Lfunc_end62:
	.size	_Z6kernelI10flag_tailshLj256ELj3ELb0ELj100EEvPKT0_PS1_, .Lfunc_end62-_Z6kernelI10flag_tailshLj256ELj3ELb0ELj100EEvPKT0_PS1_
                                        ; -- End function
	.set _Z6kernelI10flag_tailshLj256ELj3ELb0ELj100EEvPKT0_PS1_.num_vgpr, 6
	.set _Z6kernelI10flag_tailshLj256ELj3ELb0ELj100EEvPKT0_PS1_.num_agpr, 0
	.set _Z6kernelI10flag_tailshLj256ELj3ELb0ELj100EEvPKT0_PS1_.numbered_sgpr, 14
	.set _Z6kernelI10flag_tailshLj256ELj3ELb0ELj100EEvPKT0_PS1_.num_named_barrier, 0
	.set _Z6kernelI10flag_tailshLj256ELj3ELb0ELj100EEvPKT0_PS1_.private_seg_size, 0
	.set _Z6kernelI10flag_tailshLj256ELj3ELb0ELj100EEvPKT0_PS1_.uses_vcc, 1
	.set _Z6kernelI10flag_tailshLj256ELj3ELb0ELj100EEvPKT0_PS1_.uses_flat_scratch, 0
	.set _Z6kernelI10flag_tailshLj256ELj3ELb0ELj100EEvPKT0_PS1_.has_dyn_sized_stack, 0
	.set _Z6kernelI10flag_tailshLj256ELj3ELb0ELj100EEvPKT0_PS1_.has_recursion, 0
	.set _Z6kernelI10flag_tailshLj256ELj3ELb0ELj100EEvPKT0_PS1_.has_indirect_call, 0
	.section	.AMDGPU.csdata,"",@progbits
; Kernel info:
; codeLenInByte = 324
; TotalNumSgprs: 18
; NumVgprs: 6
; ScratchSize: 0
; MemoryBound: 0
; FloatMode: 240
; IeeeMode: 1
; LDSByteSize: 512 bytes/workgroup (compile time only)
; SGPRBlocks: 2
; VGPRBlocks: 1
; NumSGPRsForWavesPerEU: 18
; NumVGPRsForWavesPerEU: 6
; Occupancy: 10
; WaveLimiterHint : 1
; COMPUTE_PGM_RSRC2:SCRATCH_EN: 0
; COMPUTE_PGM_RSRC2:USER_SGPR: 6
; COMPUTE_PGM_RSRC2:TRAP_HANDLER: 0
; COMPUTE_PGM_RSRC2:TGID_X_EN: 1
; COMPUTE_PGM_RSRC2:TGID_Y_EN: 0
; COMPUTE_PGM_RSRC2:TGID_Z_EN: 0
; COMPUTE_PGM_RSRC2:TIDIG_COMP_CNT: 0
	.section	.text._Z6kernelI10flag_tailshLj256ELj4ELb0ELj100EEvPKT0_PS1_,"axG",@progbits,_Z6kernelI10flag_tailshLj256ELj4ELb0ELj100EEvPKT0_PS1_,comdat
	.protected	_Z6kernelI10flag_tailshLj256ELj4ELb0ELj100EEvPKT0_PS1_ ; -- Begin function _Z6kernelI10flag_tailshLj256ELj4ELb0ELj100EEvPKT0_PS1_
	.globl	_Z6kernelI10flag_tailshLj256ELj4ELb0ELj100EEvPKT0_PS1_
	.p2align	8
	.type	_Z6kernelI10flag_tailshLj256ELj4ELb0ELj100EEvPKT0_PS1_,@function
_Z6kernelI10flag_tailshLj256ELj4ELb0ELj100EEvPKT0_PS1_: ; @_Z6kernelI10flag_tailshLj256ELj4ELb0ELj100EEvPKT0_PS1_
; %bb.0:
	s_load_dwordx4 s[0:3], s[4:5], 0x0
	s_lshl_b32 s10, s6, 10
	s_movk_i32 s11, 0xff
	v_cmp_ne_u32_e32 vcc, s11, v0
	s_movk_i32 s12, 0x64
	s_waitcnt lgkmcnt(0)
	s_add_u32 s0, s0, s10
	s_addc_u32 s1, s1, 0
	global_load_ubyte v1, v0, s[0:1] offset:256
	global_load_ubyte v2, v0, s[0:1] offset:512
	global_load_ubyte v3, v0, s[0:1]
	global_load_ubyte v4, v0, s[0:1] offset:768
	s_mov_b32 s0, 0xc0c0004
	s_waitcnt vmcnt(1)
	v_perm_b32 v1, v3, v1, s0
	s_waitcnt vmcnt(0)
	v_perm_b32 v2, v2, v4, s0
	v_lshl_or_b32 v1, v2, 16, v1
	s_branch .LBB63_2
.LBB63_1:                               ;   in Loop: Header=BB63_2 Depth=1
	s_or_b64 exec, exec, s[8:9]
	v_cndmask_b32_e64 v3, 0, 1, s[6:7]
	v_cndmask_b32_e64 v4, 0, 1, s[4:5]
	;; [unrolled: 1-line block ×3, first 2 shown]
	v_add_u16_e32 v5, v5, v1
	v_add_u16_sdwa v4, v4, v1 dst_sel:BYTE_1 dst_unused:UNUSED_PAD src0_sel:DWORD src1_sel:BYTE_1
	v_add_u16_sdwa v3, v3, v1 dst_sel:DWORD dst_unused:UNUSED_PAD src0_sel:DWORD src1_sel:WORD_1
	v_add_u16_sdwa v1, v2, v1 dst_sel:BYTE_1 dst_unused:UNUSED_PAD src0_sel:DWORD src1_sel:BYTE_3
	v_or_b32_sdwa v4, v5, v4 dst_sel:DWORD dst_unused:UNUSED_PAD src0_sel:BYTE_0 src1_sel:DWORD
	v_or_b32_sdwa v1, v3, v1 dst_sel:WORD_1 dst_unused:UNUSED_PAD src0_sel:BYTE_0 src1_sel:DWORD
	s_add_i32 s12, s12, -1
	v_or_b32_sdwa v1, v4, v1 dst_sel:DWORD dst_unused:UNUSED_PAD src0_sel:WORD_0 src1_sel:DWORD
	s_cmp_lg_u32 s12, 0
	s_barrier
	s_cbranch_scc0 .LBB63_4
.LBB63_2:                               ; =>This Inner Loop Header: Depth=1
	v_lshrrev_b32_e32 v2, 8, v1
	v_and_b32_sdwa v3, v1, s11 dst_sel:DWORD dst_unused:UNUSED_PAD src0_sel:WORD_1 src1_sel:DWORD
	v_cmp_eq_u16_sdwa s[0:1], v1, v2 src0_sel:BYTE_0 src1_sel:BYTE_0
	v_cmp_eq_u16_sdwa s[4:5], v2, v3 src0_sel:BYTE_0 src1_sel:DWORD
	v_cmp_eq_u16_sdwa s[6:7], v3, v1 src0_sel:DWORD src1_sel:BYTE_3
	v_mov_b32_e32 v2, 1
	ds_write_b8 v0, v1 offset:256
	s_waitcnt lgkmcnt(0)
	s_barrier
	s_and_saveexec_b64 s[8:9], vcc
	s_cbranch_execz .LBB63_1
; %bb.3:                                ;   in Loop: Header=BB63_2 Depth=1
	ds_read_u8 v2, v0 offset:257
	s_waitcnt lgkmcnt(0)
	v_cmp_eq_u16_sdwa s[14:15], v1, v2 src0_sel:BYTE_3 src1_sel:DWORD
	v_cndmask_b32_e64 v2, 0, 1, s[14:15]
	s_branch .LBB63_1
.LBB63_4:
	s_add_u32 s0, s2, s10
	s_addc_u32 s1, s3, 0
	v_mov_b32_e32 v3, s1
	v_add_co_u32_e32 v2, vcc, s0, v0
	v_addc_co_u32_e32 v3, vcc, 0, v3, vcc
	v_lshrrev_b32_e32 v0, 8, v1
	global_store_byte v[2:3], v1, off
	global_store_byte v[2:3], v0, off offset:256
	global_store_byte_d16_hi v[2:3], v1, off offset:512
	v_lshrrev_b32_e32 v0, 24, v1
	global_store_byte v[2:3], v0, off offset:768
	s_endpgm
	.section	.rodata,"a",@progbits
	.p2align	6, 0x0
	.amdhsa_kernel _Z6kernelI10flag_tailshLj256ELj4ELb0ELj100EEvPKT0_PS1_
		.amdhsa_group_segment_fixed_size 512
		.amdhsa_private_segment_fixed_size 0
		.amdhsa_kernarg_size 16
		.amdhsa_user_sgpr_count 6
		.amdhsa_user_sgpr_private_segment_buffer 1
		.amdhsa_user_sgpr_dispatch_ptr 0
		.amdhsa_user_sgpr_queue_ptr 0
		.amdhsa_user_sgpr_kernarg_segment_ptr 1
		.amdhsa_user_sgpr_dispatch_id 0
		.amdhsa_user_sgpr_flat_scratch_init 0
		.amdhsa_user_sgpr_private_segment_size 0
		.amdhsa_uses_dynamic_stack 0
		.amdhsa_system_sgpr_private_segment_wavefront_offset 0
		.amdhsa_system_sgpr_workgroup_id_x 1
		.amdhsa_system_sgpr_workgroup_id_y 0
		.amdhsa_system_sgpr_workgroup_id_z 0
		.amdhsa_system_sgpr_workgroup_info 0
		.amdhsa_system_vgpr_workitem_id 0
		.amdhsa_next_free_vgpr 6
		.amdhsa_next_free_sgpr 16
		.amdhsa_reserve_vcc 1
		.amdhsa_reserve_flat_scratch 0
		.amdhsa_float_round_mode_32 0
		.amdhsa_float_round_mode_16_64 0
		.amdhsa_float_denorm_mode_32 3
		.amdhsa_float_denorm_mode_16_64 3
		.amdhsa_dx10_clamp 1
		.amdhsa_ieee_mode 1
		.amdhsa_fp16_overflow 0
		.amdhsa_exception_fp_ieee_invalid_op 0
		.amdhsa_exception_fp_denorm_src 0
		.amdhsa_exception_fp_ieee_div_zero 0
		.amdhsa_exception_fp_ieee_overflow 0
		.amdhsa_exception_fp_ieee_underflow 0
		.amdhsa_exception_fp_ieee_inexact 0
		.amdhsa_exception_int_div_zero 0
	.end_amdhsa_kernel
	.section	.text._Z6kernelI10flag_tailshLj256ELj4ELb0ELj100EEvPKT0_PS1_,"axG",@progbits,_Z6kernelI10flag_tailshLj256ELj4ELb0ELj100EEvPKT0_PS1_,comdat
.Lfunc_end63:
	.size	_Z6kernelI10flag_tailshLj256ELj4ELb0ELj100EEvPKT0_PS1_, .Lfunc_end63-_Z6kernelI10flag_tailshLj256ELj4ELb0ELj100EEvPKT0_PS1_
                                        ; -- End function
	.set _Z6kernelI10flag_tailshLj256ELj4ELb0ELj100EEvPKT0_PS1_.num_vgpr, 6
	.set _Z6kernelI10flag_tailshLj256ELj4ELb0ELj100EEvPKT0_PS1_.num_agpr, 0
	.set _Z6kernelI10flag_tailshLj256ELj4ELb0ELj100EEvPKT0_PS1_.numbered_sgpr, 16
	.set _Z6kernelI10flag_tailshLj256ELj4ELb0ELj100EEvPKT0_PS1_.num_named_barrier, 0
	.set _Z6kernelI10flag_tailshLj256ELj4ELb0ELj100EEvPKT0_PS1_.private_seg_size, 0
	.set _Z6kernelI10flag_tailshLj256ELj4ELb0ELj100EEvPKT0_PS1_.uses_vcc, 1
	.set _Z6kernelI10flag_tailshLj256ELj4ELb0ELj100EEvPKT0_PS1_.uses_flat_scratch, 0
	.set _Z6kernelI10flag_tailshLj256ELj4ELb0ELj100EEvPKT0_PS1_.has_dyn_sized_stack, 0
	.set _Z6kernelI10flag_tailshLj256ELj4ELb0ELj100EEvPKT0_PS1_.has_recursion, 0
	.set _Z6kernelI10flag_tailshLj256ELj4ELb0ELj100EEvPKT0_PS1_.has_indirect_call, 0
	.section	.AMDGPU.csdata,"",@progbits
; Kernel info:
; codeLenInByte = 368
; TotalNumSgprs: 20
; NumVgprs: 6
; ScratchSize: 0
; MemoryBound: 0
; FloatMode: 240
; IeeeMode: 1
; LDSByteSize: 512 bytes/workgroup (compile time only)
; SGPRBlocks: 2
; VGPRBlocks: 1
; NumSGPRsForWavesPerEU: 20
; NumVGPRsForWavesPerEU: 6
; Occupancy: 10
; WaveLimiterHint : 1
; COMPUTE_PGM_RSRC2:SCRATCH_EN: 0
; COMPUTE_PGM_RSRC2:USER_SGPR: 6
; COMPUTE_PGM_RSRC2:TRAP_HANDLER: 0
; COMPUTE_PGM_RSRC2:TGID_X_EN: 1
; COMPUTE_PGM_RSRC2:TGID_Y_EN: 0
; COMPUTE_PGM_RSRC2:TGID_Z_EN: 0
; COMPUTE_PGM_RSRC2:TIDIG_COMP_CNT: 0
	.section	.text._Z6kernelI10flag_tailshLj256ELj8ELb0ELj100EEvPKT0_PS1_,"axG",@progbits,_Z6kernelI10flag_tailshLj256ELj8ELb0ELj100EEvPKT0_PS1_,comdat
	.protected	_Z6kernelI10flag_tailshLj256ELj8ELb0ELj100EEvPKT0_PS1_ ; -- Begin function _Z6kernelI10flag_tailshLj256ELj8ELb0ELj100EEvPKT0_PS1_
	.globl	_Z6kernelI10flag_tailshLj256ELj8ELb0ELj100EEvPKT0_PS1_
	.p2align	8
	.type	_Z6kernelI10flag_tailshLj256ELj8ELb0ELj100EEvPKT0_PS1_,@function
_Z6kernelI10flag_tailshLj256ELj8ELb0ELj100EEvPKT0_PS1_: ; @_Z6kernelI10flag_tailshLj256ELj8ELb0ELj100EEvPKT0_PS1_
; %bb.0:
	s_load_dwordx4 s[0:3], s[4:5], 0x0
	s_lshl_b32 s4, s6, 11
	s_movk_i32 s5, 0xff
	s_movk_i32 s6, 0x64
	;; [unrolled: 1-line block ×3, first 2 shown]
	s_waitcnt lgkmcnt(0)
	s_add_u32 s0, s0, s4
	s_addc_u32 s1, s1, 0
	global_load_ubyte v1, v0, s[0:1] offset:256
	global_load_ubyte v2, v0, s[0:1] offset:1536
	global_load_ubyte v3, v0, s[0:1] offset:1024
	global_load_ubyte v4, v0, s[0:1] offset:512
	global_load_ubyte v5, v0, s[0:1]
	global_load_ubyte v6, v0, s[0:1] offset:768
	global_load_ubyte v7, v0, s[0:1] offset:1280
	;; [unrolled: 1-line block ×3, first 2 shown]
	s_mov_b32 s0, 0xc0c0004
	s_mov_b32 s8, 0x3020104
	v_cmp_ne_u32_e32 vcc, s5, v0
	s_waitcnt vmcnt(3)
	v_perm_b32 v1, v5, v1, s0
	s_waitcnt vmcnt(2)
	v_perm_b32 v4, v4, v6, s0
	;; [unrolled: 2-line block ×4, first 2 shown]
	v_lshl_or_b32 v1, v4, 16, v1
	v_lshl_or_b32 v2, v2, 16, v3
	v_mov_b32_e32 v5, 8
	s_branch .LBB64_2
.LBB64_1:                               ;   in Loop: Header=BB64_2 Depth=1
	s_or_b64 exec, exec, s[0:1]
	v_add_u16_e32 v8, v9, v1
	v_add_u16_sdwa v7, v9, v7 dst_sel:BYTE_1 dst_unused:UNUSED_PAD src0_sel:BYTE_1 src1_sel:DWORD
	v_or_b32_sdwa v7, v8, v7 dst_sel:DWORD dst_unused:UNUSED_PAD src0_sel:BYTE_0 src1_sel:DWORD
	v_add_u16_sdwa v1, v9, v1 dst_sel:DWORD dst_unused:UNUSED_PAD src0_sel:WORD_1 src1_sel:WORD_1
	v_add_u16_sdwa v8, v9, v3 dst_sel:BYTE_1 dst_unused:UNUSED_PAD src0_sel:BYTE_3 src1_sel:DWORD
	v_or_b32_sdwa v3, v1, v8 dst_sel:DWORD dst_unused:UNUSED_PAD src0_sel:BYTE_0 src1_sel:DWORD
	v_add_u16_e32 v1, v4, v2
	v_add_u16_sdwa v6, v4, v6 dst_sel:BYTE_1 dst_unused:UNUSED_PAD src0_sel:BYTE_1 src1_sel:DWORD
	v_or_b32_sdwa v6, v1, v6 dst_sel:DWORD dst_unused:UNUSED_PAD src0_sel:BYTE_0 src1_sel:DWORD
	v_add_u16_sdwa v1, v4, v2 dst_sel:DWORD dst_unused:UNUSED_PAD src0_sel:WORD_1 src1_sel:WORD_1
	v_add_u16_sdwa v2, v4, v2 dst_sel:BYTE_1 dst_unused:UNUSED_PAD src0_sel:BYTE_3 src1_sel:BYTE_3
	v_or_b32_sdwa v4, v1, v2 dst_sel:DWORD dst_unused:UNUSED_PAD src0_sel:BYTE_0 src1_sel:DWORD
	v_lshrrev_b32_sdwa v1, v5, v7 dst_sel:BYTE_1 dst_unused:UNUSED_PAD src0_sel:DWORD src1_sel:WORD_0
	v_lshrrev_b32_sdwa v8, v5, v8 dst_sel:BYTE_1 dst_unused:UNUSED_PAD src0_sel:DWORD src1_sel:DWORD
	v_lshrrev_b32_sdwa v9, v5, v6 dst_sel:BYTE_1 dst_unused:UNUSED_PAD src0_sel:DWORD src1_sel:WORD_0
	v_lshrrev_b32_sdwa v2, v5, v2 dst_sel:BYTE_1 dst_unused:UNUSED_PAD src0_sel:DWORD src1_sel:DWORD
	v_or_b32_sdwa v1, v7, v1 dst_sel:DWORD dst_unused:UNUSED_PAD src0_sel:BYTE_0 src1_sel:DWORD
	v_or_b32_sdwa v8, v3, v8 dst_sel:WORD_1 dst_unused:UNUSED_PAD src0_sel:BYTE_0 src1_sel:DWORD
	v_or_b32_sdwa v1, v1, v8 dst_sel:DWORD dst_unused:UNUSED_PAD src0_sel:WORD_0 src1_sel:DWORD
	v_or_b32_sdwa v8, v6, v9 dst_sel:DWORD dst_unused:UNUSED_PAD src0_sel:BYTE_0 src1_sel:DWORD
	v_or_b32_sdwa v2, v4, v2 dst_sel:WORD_1 dst_unused:UNUSED_PAD src0_sel:BYTE_0 src1_sel:DWORD
	s_add_i32 s6, s6, -1
	s_cmp_lg_u32 s6, 0
	v_or_b32_sdwa v2, v8, v2 dst_sel:DWORD dst_unused:UNUSED_PAD src0_sel:WORD_0 src1_sel:DWORD
	s_barrier
	s_cbranch_scc0 .LBB64_4
.LBB64_2:                               ; =>This Inner Loop Header: Depth=1
	v_lshrrev_b32_e32 v6, 8, v2
	v_and_b32_sdwa v8, v2, s5 dst_sel:DWORD dst_unused:UNUSED_PAD src0_sel:WORD_1 src1_sel:DWORD
	v_lshrrev_b64 v[3:4], 24, v[1:2]
	v_cmp_eq_u16_sdwa s[0:1], v2, v6 src0_sel:BYTE_0 src1_sel:BYTE_0
	v_cndmask_b32_e64 v4, 0, 1, s[0:1]
	v_cmp_eq_u16_sdwa s[0:1], v6, v8 src0_sel:BYTE_0 src1_sel:DWORD
	v_and_b32_sdwa v9, v1, s5 dst_sel:DWORD dst_unused:UNUSED_PAD src0_sel:WORD_1 src1_sel:DWORD
	v_cndmask_b32_e64 v11, 0, 1, s[0:1]
	v_cmp_eq_u16_sdwa s[0:1], v8, v2 src0_sel:DWORD src1_sel:BYTE_3
	v_lshrrev_b32_e32 v7, 8, v1
	v_cndmask_b32_e64 v12, 0, 1, s[0:1]
	v_cmp_eq_u16_sdwa s[0:1], v1, v9 src0_sel:BYTE_1 src1_sel:DWORD
	v_cndmask_b32_e64 v8, 0, 1, s[0:1]
	v_cmp_eq_u16_sdwa s[0:1], v1, v7 src0_sel:BYTE_0 src1_sel:BYTE_0
	v_lshlrev_b16_e32 v8, 8, v8
	v_cndmask_b32_e64 v10, 0, 1, s[0:1]
	v_cmp_eq_u16_sdwa s[0:1], v1, v2 src0_sel:BYTE_3 src1_sel:BYTE_0
	v_or_b32_e32 v8, v10, v8
	v_cndmask_b32_e64 v10, 0, 1, s[0:1]
	v_cmp_eq_u16_sdwa s[0:1], v9, v3 src0_sel:DWORD src1_sel:BYTE_0
	v_lshlrev_b16_e32 v13, 8, v10
	v_cndmask_b32_e64 v9, 0, 1, s[0:1]
	v_or_b32_e32 v10, v9, v13
	v_lshlrev_b16_e32 v9, 8, v11
	v_or_b32_e32 v4, v4, v9
	v_or_b32_sdwa v9, v12, s7 dst_sel:WORD_1 dst_unused:UNUSED_PAD src0_sel:DWORD src1_sel:DWORD
	v_or_b32_sdwa v4, v4, v9 dst_sel:DWORD dst_unused:UNUSED_PAD src0_sel:WORD_0 src1_sel:DWORD
	v_and_b32_e32 v9, 1, v8
	v_lshrrev_b32_sdwa v11, v5, v8 dst_sel:BYTE_1 dst_unused:UNUSED_PAD src0_sel:DWORD src1_sel:WORD_0
	v_or_b32_e32 v9, v9, v11
	v_and_b32_e32 v11, 1, v10
	v_lshrrev_b32_sdwa v12, v5, v13 dst_sel:BYTE_1 dst_unused:UNUSED_PAD src0_sel:DWORD src1_sel:DWORD
	v_or_b32_sdwa v11, v11, v12 dst_sel:WORD_1 dst_unused:UNUSED_PAD src0_sel:DWORD src1_sel:DWORD
	v_or_b32_sdwa v9, v9, v11 dst_sel:DWORD dst_unused:UNUSED_PAD src0_sel:WORD_0 src1_sel:DWORD
	ds_write_b8 v0, v1 offset:256
	s_waitcnt lgkmcnt(0)
	s_barrier
	s_and_saveexec_b64 s[0:1], vcc
	s_cbranch_execz .LBB64_1
; %bb.3:                                ;   in Loop: Header=BB64_2 Depth=1
	ds_read_u8 v11, v0 offset:257
	v_lshlrev_b32_e32 v9, 16, v10
	v_or_b32_sdwa v8, v8, v9 dst_sel:DWORD dst_unused:UNUSED_PAD src0_sel:WORD_0 src1_sel:DWORD
	v_perm_b32 v9, v8, v8, s8
	v_lshrrev_b32_sdwa v10, v5, v4 dst_sel:BYTE_1 dst_unused:UNUSED_PAD src0_sel:DWORD src1_sel:DWORD
	s_waitcnt lgkmcnt(0)
	v_cmp_eq_u16_sdwa s[10:11], v2, v11 src0_sel:BYTE_3 src1_sel:DWORD
	v_cndmask_b32_e64 v8, 0, 1, s[10:11]
	v_or_b32_sdwa v10, v4, v10 dst_sel:DWORD dst_unused:UNUSED_PAD src0_sel:BYTE_0 src1_sel:DWORD
	v_and_b32_sdwa v4, v4, s5 dst_sel:DWORD dst_unused:UNUSED_PAD src0_sel:WORD_1 src1_sel:DWORD
	v_lshlrev_b16_e32 v8, 8, v8
	v_or_b32_sdwa v4, v4, v8 dst_sel:WORD_1 dst_unused:UNUSED_PAD src0_sel:DWORD src1_sel:DWORD
	v_or_b32_sdwa v4, v10, v4 dst_sel:DWORD dst_unused:UNUSED_PAD src0_sel:WORD_0 src1_sel:DWORD
	s_branch .LBB64_1
.LBB64_4:
	v_lshlrev_b32_e32 v1, 16, v3
	s_add_u32 s0, s2, s4
	v_or_b32_sdwa v2, v7, v1 dst_sel:DWORD dst_unused:UNUSED_PAD src0_sel:WORD_0 src1_sel:DWORD
	v_lshlrev_b32_e32 v1, 16, v4
	s_addc_u32 s1, s3, 0
	v_or_b32_sdwa v3, v6, v1 dst_sel:DWORD dst_unused:UNUSED_PAD src0_sel:WORD_0 src1_sel:DWORD
	v_mov_b32_e32 v1, s1
	v_add_co_u32_e32 v0, vcc, s0, v0
	v_addc_co_u32_e32 v1, vcc, 0, v1, vcc
	v_lshrrev_b32_e32 v4, 8, v2
	global_store_byte v[0:1], v2, off
	global_store_byte v[0:1], v4, off offset:256
	global_store_byte_d16_hi v[0:1], v2, off offset:512
	v_lshrrev_b32_e32 v2, 24, v2
	global_store_byte v[0:1], v2, off offset:768
	global_store_byte v[0:1], v3, off offset:1024
	v_lshrrev_b32_e32 v2, 8, v3
	global_store_byte v[0:1], v2, off offset:1280
	global_store_byte_d16_hi v[0:1], v3, off offset:1536
	v_lshrrev_b32_e32 v2, 24, v3
	global_store_byte v[0:1], v2, off offset:1792
	s_endpgm
	.section	.rodata,"a",@progbits
	.p2align	6, 0x0
	.amdhsa_kernel _Z6kernelI10flag_tailshLj256ELj8ELb0ELj100EEvPKT0_PS1_
		.amdhsa_group_segment_fixed_size 512
		.amdhsa_private_segment_fixed_size 0
		.amdhsa_kernarg_size 16
		.amdhsa_user_sgpr_count 6
		.amdhsa_user_sgpr_private_segment_buffer 1
		.amdhsa_user_sgpr_dispatch_ptr 0
		.amdhsa_user_sgpr_queue_ptr 0
		.amdhsa_user_sgpr_kernarg_segment_ptr 1
		.amdhsa_user_sgpr_dispatch_id 0
		.amdhsa_user_sgpr_flat_scratch_init 0
		.amdhsa_user_sgpr_private_segment_size 0
		.amdhsa_uses_dynamic_stack 0
		.amdhsa_system_sgpr_private_segment_wavefront_offset 0
		.amdhsa_system_sgpr_workgroup_id_x 1
		.amdhsa_system_sgpr_workgroup_id_y 0
		.amdhsa_system_sgpr_workgroup_id_z 0
		.amdhsa_system_sgpr_workgroup_info 0
		.amdhsa_system_vgpr_workitem_id 0
		.amdhsa_next_free_vgpr 14
		.amdhsa_next_free_sgpr 12
		.amdhsa_reserve_vcc 1
		.amdhsa_reserve_flat_scratch 0
		.amdhsa_float_round_mode_32 0
		.amdhsa_float_round_mode_16_64 0
		.amdhsa_float_denorm_mode_32 3
		.amdhsa_float_denorm_mode_16_64 3
		.amdhsa_dx10_clamp 1
		.amdhsa_ieee_mode 1
		.amdhsa_fp16_overflow 0
		.amdhsa_exception_fp_ieee_invalid_op 0
		.amdhsa_exception_fp_denorm_src 0
		.amdhsa_exception_fp_ieee_div_zero 0
		.amdhsa_exception_fp_ieee_overflow 0
		.amdhsa_exception_fp_ieee_underflow 0
		.amdhsa_exception_fp_ieee_inexact 0
		.amdhsa_exception_int_div_zero 0
	.end_amdhsa_kernel
	.section	.text._Z6kernelI10flag_tailshLj256ELj8ELb0ELj100EEvPKT0_PS1_,"axG",@progbits,_Z6kernelI10flag_tailshLj256ELj8ELb0ELj100EEvPKT0_PS1_,comdat
.Lfunc_end64:
	.size	_Z6kernelI10flag_tailshLj256ELj8ELb0ELj100EEvPKT0_PS1_, .Lfunc_end64-_Z6kernelI10flag_tailshLj256ELj8ELb0ELj100EEvPKT0_PS1_
                                        ; -- End function
	.set _Z6kernelI10flag_tailshLj256ELj8ELb0ELj100EEvPKT0_PS1_.num_vgpr, 14
	.set _Z6kernelI10flag_tailshLj256ELj8ELb0ELj100EEvPKT0_PS1_.num_agpr, 0
	.set _Z6kernelI10flag_tailshLj256ELj8ELb0ELj100EEvPKT0_PS1_.numbered_sgpr, 12
	.set _Z6kernelI10flag_tailshLj256ELj8ELb0ELj100EEvPKT0_PS1_.num_named_barrier, 0
	.set _Z6kernelI10flag_tailshLj256ELj8ELb0ELj100EEvPKT0_PS1_.private_seg_size, 0
	.set _Z6kernelI10flag_tailshLj256ELj8ELb0ELj100EEvPKT0_PS1_.uses_vcc, 1
	.set _Z6kernelI10flag_tailshLj256ELj8ELb0ELj100EEvPKT0_PS1_.uses_flat_scratch, 0
	.set _Z6kernelI10flag_tailshLj256ELj8ELb0ELj100EEvPKT0_PS1_.has_dyn_sized_stack, 0
	.set _Z6kernelI10flag_tailshLj256ELj8ELb0ELj100EEvPKT0_PS1_.has_recursion, 0
	.set _Z6kernelI10flag_tailshLj256ELj8ELb0ELj100EEvPKT0_PS1_.has_indirect_call, 0
	.section	.AMDGPU.csdata,"",@progbits
; Kernel info:
; codeLenInByte = 856
; TotalNumSgprs: 16
; NumVgprs: 14
; ScratchSize: 0
; MemoryBound: 0
; FloatMode: 240
; IeeeMode: 1
; LDSByteSize: 512 bytes/workgroup (compile time only)
; SGPRBlocks: 1
; VGPRBlocks: 3
; NumSGPRsForWavesPerEU: 16
; NumVGPRsForWavesPerEU: 14
; Occupancy: 10
; WaveLimiterHint : 1
; COMPUTE_PGM_RSRC2:SCRATCH_EN: 0
; COMPUTE_PGM_RSRC2:USER_SGPR: 6
; COMPUTE_PGM_RSRC2:TRAP_HANDLER: 0
; COMPUTE_PGM_RSRC2:TGID_X_EN: 1
; COMPUTE_PGM_RSRC2:TGID_Y_EN: 0
; COMPUTE_PGM_RSRC2:TGID_Z_EN: 0
; COMPUTE_PGM_RSRC2:TIDIG_COMP_CNT: 0
	.section	.text._Z6kernelI10flag_tailshLj256ELj1ELb1ELj100EEvPKT0_PS1_,"axG",@progbits,_Z6kernelI10flag_tailshLj256ELj1ELb1ELj100EEvPKT0_PS1_,comdat
	.protected	_Z6kernelI10flag_tailshLj256ELj1ELb1ELj100EEvPKT0_PS1_ ; -- Begin function _Z6kernelI10flag_tailshLj256ELj1ELb1ELj100EEvPKT0_PS1_
	.globl	_Z6kernelI10flag_tailshLj256ELj1ELb1ELj100EEvPKT0_PS1_
	.p2align	8
	.type	_Z6kernelI10flag_tailshLj256ELj1ELb1ELj100EEvPKT0_PS1_,@function
_Z6kernelI10flag_tailshLj256ELj1ELb1ELj100EEvPKT0_PS1_: ; @_Z6kernelI10flag_tailshLj256ELj1ELb1ELj100EEvPKT0_PS1_
; %bb.0:
	s_load_dwordx4 s[0:3], s[4:5], 0x0
	s_lshl_b32 s4, s6, 8
	s_movk_i32 s5, 0x64
	s_waitcnt lgkmcnt(0)
	s_add_u32 s0, s0, s4
	s_addc_u32 s1, s1, 0
	global_load_ubyte v1, v0, s[0:1]
	s_movk_i32 s0, 0xff
	v_cmp_ne_u32_e32 vcc, s0, v0
	s_branch .LBB65_2
.LBB65_1:                               ;   in Loop: Header=BB65_2 Depth=1
	s_or_b64 exec, exec, s[0:1]
	s_waitcnt lgkmcnt(0)
	v_cmp_eq_u16_sdwa s[0:1], v1, v2 src0_sel:BYTE_0 src1_sel:BYTE_0
	v_cndmask_b32_e64 v2, 0, 1, s[0:1]
	s_add_i32 s5, s5, -1
	v_add_u16_e32 v1, v1, v2
	s_cmp_lg_u32 s5, 0
	s_barrier
	s_cbranch_scc0 .LBB65_4
.LBB65_2:                               ; =>This Inner Loop Header: Depth=1
	v_mov_b32_e32 v2, 0x7b
	s_waitcnt vmcnt(0)
	ds_write_b8 v0, v1 offset:256
	s_waitcnt lgkmcnt(0)
	s_barrier
	s_and_saveexec_b64 s[0:1], vcc
	s_cbranch_execz .LBB65_1
; %bb.3:                                ;   in Loop: Header=BB65_2 Depth=1
	ds_read_u8 v2, v0 offset:257
	s_branch .LBB65_1
.LBB65_4:
	s_add_u32 s0, s2, s4
	s_addc_u32 s1, s3, 0
	v_mov_b32_e32 v3, s1
	v_add_co_u32_e32 v2, vcc, s0, v0
	v_addc_co_u32_e32 v3, vcc, 0, v3, vcc
	global_store_byte v[2:3], v1, off
	s_endpgm
	.section	.rodata,"a",@progbits
	.p2align	6, 0x0
	.amdhsa_kernel _Z6kernelI10flag_tailshLj256ELj1ELb1ELj100EEvPKT0_PS1_
		.amdhsa_group_segment_fixed_size 512
		.amdhsa_private_segment_fixed_size 0
		.amdhsa_kernarg_size 16
		.amdhsa_user_sgpr_count 6
		.amdhsa_user_sgpr_private_segment_buffer 1
		.amdhsa_user_sgpr_dispatch_ptr 0
		.amdhsa_user_sgpr_queue_ptr 0
		.amdhsa_user_sgpr_kernarg_segment_ptr 1
		.amdhsa_user_sgpr_dispatch_id 0
		.amdhsa_user_sgpr_flat_scratch_init 0
		.amdhsa_user_sgpr_private_segment_size 0
		.amdhsa_uses_dynamic_stack 0
		.amdhsa_system_sgpr_private_segment_wavefront_offset 0
		.amdhsa_system_sgpr_workgroup_id_x 1
		.amdhsa_system_sgpr_workgroup_id_y 0
		.amdhsa_system_sgpr_workgroup_id_z 0
		.amdhsa_system_sgpr_workgroup_info 0
		.amdhsa_system_vgpr_workitem_id 0
		.amdhsa_next_free_vgpr 4
		.amdhsa_next_free_sgpr 7
		.amdhsa_reserve_vcc 1
		.amdhsa_reserve_flat_scratch 0
		.amdhsa_float_round_mode_32 0
		.amdhsa_float_round_mode_16_64 0
		.amdhsa_float_denorm_mode_32 3
		.amdhsa_float_denorm_mode_16_64 3
		.amdhsa_dx10_clamp 1
		.amdhsa_ieee_mode 1
		.amdhsa_fp16_overflow 0
		.amdhsa_exception_fp_ieee_invalid_op 0
		.amdhsa_exception_fp_denorm_src 0
		.amdhsa_exception_fp_ieee_div_zero 0
		.amdhsa_exception_fp_ieee_overflow 0
		.amdhsa_exception_fp_ieee_underflow 0
		.amdhsa_exception_fp_ieee_inexact 0
		.amdhsa_exception_int_div_zero 0
	.end_amdhsa_kernel
	.section	.text._Z6kernelI10flag_tailshLj256ELj1ELb1ELj100EEvPKT0_PS1_,"axG",@progbits,_Z6kernelI10flag_tailshLj256ELj1ELb1ELj100EEvPKT0_PS1_,comdat
.Lfunc_end65:
	.size	_Z6kernelI10flag_tailshLj256ELj1ELb1ELj100EEvPKT0_PS1_, .Lfunc_end65-_Z6kernelI10flag_tailshLj256ELj1ELb1ELj100EEvPKT0_PS1_
                                        ; -- End function
	.set _Z6kernelI10flag_tailshLj256ELj1ELb1ELj100EEvPKT0_PS1_.num_vgpr, 4
	.set _Z6kernelI10flag_tailshLj256ELj1ELb1ELj100EEvPKT0_PS1_.num_agpr, 0
	.set _Z6kernelI10flag_tailshLj256ELj1ELb1ELj100EEvPKT0_PS1_.numbered_sgpr, 7
	.set _Z6kernelI10flag_tailshLj256ELj1ELb1ELj100EEvPKT0_PS1_.num_named_barrier, 0
	.set _Z6kernelI10flag_tailshLj256ELj1ELb1ELj100EEvPKT0_PS1_.private_seg_size, 0
	.set _Z6kernelI10flag_tailshLj256ELj1ELb1ELj100EEvPKT0_PS1_.uses_vcc, 1
	.set _Z6kernelI10flag_tailshLj256ELj1ELb1ELj100EEvPKT0_PS1_.uses_flat_scratch, 0
	.set _Z6kernelI10flag_tailshLj256ELj1ELb1ELj100EEvPKT0_PS1_.has_dyn_sized_stack, 0
	.set _Z6kernelI10flag_tailshLj256ELj1ELb1ELj100EEvPKT0_PS1_.has_recursion, 0
	.set _Z6kernelI10flag_tailshLj256ELj1ELb1ELj100EEvPKT0_PS1_.has_indirect_call, 0
	.section	.AMDGPU.csdata,"",@progbits
; Kernel info:
; codeLenInByte = 172
; TotalNumSgprs: 11
; NumVgprs: 4
; ScratchSize: 0
; MemoryBound: 0
; FloatMode: 240
; IeeeMode: 1
; LDSByteSize: 512 bytes/workgroup (compile time only)
; SGPRBlocks: 1
; VGPRBlocks: 0
; NumSGPRsForWavesPerEU: 11
; NumVGPRsForWavesPerEU: 4
; Occupancy: 10
; WaveLimiterHint : 0
; COMPUTE_PGM_RSRC2:SCRATCH_EN: 0
; COMPUTE_PGM_RSRC2:USER_SGPR: 6
; COMPUTE_PGM_RSRC2:TRAP_HANDLER: 0
; COMPUTE_PGM_RSRC2:TGID_X_EN: 1
; COMPUTE_PGM_RSRC2:TGID_Y_EN: 0
; COMPUTE_PGM_RSRC2:TGID_Z_EN: 0
; COMPUTE_PGM_RSRC2:TIDIG_COMP_CNT: 0
	.section	.text._Z6kernelI10flag_tailshLj256ELj2ELb1ELj100EEvPKT0_PS1_,"axG",@progbits,_Z6kernelI10flag_tailshLj256ELj2ELb1ELj100EEvPKT0_PS1_,comdat
	.protected	_Z6kernelI10flag_tailshLj256ELj2ELb1ELj100EEvPKT0_PS1_ ; -- Begin function _Z6kernelI10flag_tailshLj256ELj2ELb1ELj100EEvPKT0_PS1_
	.globl	_Z6kernelI10flag_tailshLj256ELj2ELb1ELj100EEvPKT0_PS1_
	.p2align	8
	.type	_Z6kernelI10flag_tailshLj256ELj2ELb1ELj100EEvPKT0_PS1_,@function
_Z6kernelI10flag_tailshLj256ELj2ELb1ELj100EEvPKT0_PS1_: ; @_Z6kernelI10flag_tailshLj256ELj2ELb1ELj100EEvPKT0_PS1_
; %bb.0:
	s_load_dwordx4 s[0:3], s[4:5], 0x0
	s_lshl_b32 s4, s6, 9
	s_movk_i32 s5, 0x64
	s_waitcnt lgkmcnt(0)
	s_add_u32 s0, s0, s4
	s_addc_u32 s1, s1, 0
	global_load_ubyte v1, v0, s[0:1] offset:256
	global_load_ubyte v2, v0, s[0:1]
	s_mov_b32 s0, 0xc0c0004
	s_movk_i32 s1, 0xff
	v_cmp_ne_u32_e32 vcc, s1, v0
	s_waitcnt vmcnt(0)
	v_perm_b32 v1, v2, v1, s0
	s_branch .LBB66_2
.LBB66_1:                               ;   in Loop: Header=BB66_2 Depth=1
	s_or_b64 exec, exec, s[0:1]
	v_cmp_eq_u16_sdwa s[0:1], v1, v1 src0_sel:BYTE_0 src1_sel:BYTE_1
	v_cndmask_b32_e64 v3, 0, 1, s[0:1]
	s_waitcnt lgkmcnt(0)
	v_cmp_eq_u16_sdwa s[0:1], v1, v2 src0_sel:BYTE_1 src1_sel:BYTE_0
	v_cndmask_b32_e64 v4, 0, 1, s[0:1]
	v_add_u16_e32 v2, v1, v3
	v_add_u16_sdwa v3, v1, v4 dst_sel:DWORD dst_unused:UNUSED_PAD src0_sel:BYTE_1 src1_sel:DWORD
	v_lshlrev_b16_e32 v1, 8, v3
	v_or_b32_sdwa v1, v2, v1 dst_sel:DWORD dst_unused:UNUSED_PAD src0_sel:BYTE_0 src1_sel:DWORD
	s_add_i32 s5, s5, -1
	v_and_b32_e32 v1, 0xffff, v1
	s_cmp_lg_u32 s5, 0
	s_barrier
	s_cbranch_scc0 .LBB66_4
.LBB66_2:                               ; =>This Inner Loop Header: Depth=1
	v_mov_b32_e32 v2, 0x7b
	ds_write_b8 v0, v1 offset:256
	s_waitcnt lgkmcnt(0)
	s_barrier
	s_and_saveexec_b64 s[0:1], vcc
	s_cbranch_execz .LBB66_1
; %bb.3:                                ;   in Loop: Header=BB66_2 Depth=1
	ds_read_u8 v2, v0 offset:257
	s_branch .LBB66_1
.LBB66_4:
	s_add_u32 s0, s2, s4
	s_addc_u32 s1, s3, 0
	v_mov_b32_e32 v1, s1
	v_add_co_u32_e32 v0, vcc, s0, v0
	v_addc_co_u32_e32 v1, vcc, 0, v1, vcc
	global_store_byte v[0:1], v2, off
	global_store_byte v[0:1], v3, off offset:256
	s_endpgm
	.section	.rodata,"a",@progbits
	.p2align	6, 0x0
	.amdhsa_kernel _Z6kernelI10flag_tailshLj256ELj2ELb1ELj100EEvPKT0_PS1_
		.amdhsa_group_segment_fixed_size 512
		.amdhsa_private_segment_fixed_size 0
		.amdhsa_kernarg_size 16
		.amdhsa_user_sgpr_count 6
		.amdhsa_user_sgpr_private_segment_buffer 1
		.amdhsa_user_sgpr_dispatch_ptr 0
		.amdhsa_user_sgpr_queue_ptr 0
		.amdhsa_user_sgpr_kernarg_segment_ptr 1
		.amdhsa_user_sgpr_dispatch_id 0
		.amdhsa_user_sgpr_flat_scratch_init 0
		.amdhsa_user_sgpr_private_segment_size 0
		.amdhsa_uses_dynamic_stack 0
		.amdhsa_system_sgpr_private_segment_wavefront_offset 0
		.amdhsa_system_sgpr_workgroup_id_x 1
		.amdhsa_system_sgpr_workgroup_id_y 0
		.amdhsa_system_sgpr_workgroup_id_z 0
		.amdhsa_system_sgpr_workgroup_info 0
		.amdhsa_system_vgpr_workitem_id 0
		.amdhsa_next_free_vgpr 5
		.amdhsa_next_free_sgpr 7
		.amdhsa_reserve_vcc 1
		.amdhsa_reserve_flat_scratch 0
		.amdhsa_float_round_mode_32 0
		.amdhsa_float_round_mode_16_64 0
		.amdhsa_float_denorm_mode_32 3
		.amdhsa_float_denorm_mode_16_64 3
		.amdhsa_dx10_clamp 1
		.amdhsa_ieee_mode 1
		.amdhsa_fp16_overflow 0
		.amdhsa_exception_fp_ieee_invalid_op 0
		.amdhsa_exception_fp_denorm_src 0
		.amdhsa_exception_fp_ieee_div_zero 0
		.amdhsa_exception_fp_ieee_overflow 0
		.amdhsa_exception_fp_ieee_underflow 0
		.amdhsa_exception_fp_ieee_inexact 0
		.amdhsa_exception_int_div_zero 0
	.end_amdhsa_kernel
	.section	.text._Z6kernelI10flag_tailshLj256ELj2ELb1ELj100EEvPKT0_PS1_,"axG",@progbits,_Z6kernelI10flag_tailshLj256ELj2ELb1ELj100EEvPKT0_PS1_,comdat
.Lfunc_end66:
	.size	_Z6kernelI10flag_tailshLj256ELj2ELb1ELj100EEvPKT0_PS1_, .Lfunc_end66-_Z6kernelI10flag_tailshLj256ELj2ELb1ELj100EEvPKT0_PS1_
                                        ; -- End function
	.set _Z6kernelI10flag_tailshLj256ELj2ELb1ELj100EEvPKT0_PS1_.num_vgpr, 5
	.set _Z6kernelI10flag_tailshLj256ELj2ELb1ELj100EEvPKT0_PS1_.num_agpr, 0
	.set _Z6kernelI10flag_tailshLj256ELj2ELb1ELj100EEvPKT0_PS1_.numbered_sgpr, 7
	.set _Z6kernelI10flag_tailshLj256ELj2ELb1ELj100EEvPKT0_PS1_.num_named_barrier, 0
	.set _Z6kernelI10flag_tailshLj256ELj2ELb1ELj100EEvPKT0_PS1_.private_seg_size, 0
	.set _Z6kernelI10flag_tailshLj256ELj2ELb1ELj100EEvPKT0_PS1_.uses_vcc, 1
	.set _Z6kernelI10flag_tailshLj256ELj2ELb1ELj100EEvPKT0_PS1_.uses_flat_scratch, 0
	.set _Z6kernelI10flag_tailshLj256ELj2ELb1ELj100EEvPKT0_PS1_.has_dyn_sized_stack, 0
	.set _Z6kernelI10flag_tailshLj256ELj2ELb1ELj100EEvPKT0_PS1_.has_recursion, 0
	.set _Z6kernelI10flag_tailshLj256ELj2ELb1ELj100EEvPKT0_PS1_.has_indirect_call, 0
	.section	.AMDGPU.csdata,"",@progbits
; Kernel info:
; codeLenInByte = 248
; TotalNumSgprs: 11
; NumVgprs: 5
; ScratchSize: 0
; MemoryBound: 0
; FloatMode: 240
; IeeeMode: 1
; LDSByteSize: 512 bytes/workgroup (compile time only)
; SGPRBlocks: 1
; VGPRBlocks: 1
; NumSGPRsForWavesPerEU: 11
; NumVGPRsForWavesPerEU: 5
; Occupancy: 10
; WaveLimiterHint : 1
; COMPUTE_PGM_RSRC2:SCRATCH_EN: 0
; COMPUTE_PGM_RSRC2:USER_SGPR: 6
; COMPUTE_PGM_RSRC2:TRAP_HANDLER: 0
; COMPUTE_PGM_RSRC2:TGID_X_EN: 1
; COMPUTE_PGM_RSRC2:TGID_Y_EN: 0
; COMPUTE_PGM_RSRC2:TGID_Z_EN: 0
; COMPUTE_PGM_RSRC2:TIDIG_COMP_CNT: 0
	.section	.text._Z6kernelI10flag_tailshLj256ELj3ELb1ELj100EEvPKT0_PS1_,"axG",@progbits,_Z6kernelI10flag_tailshLj256ELj3ELb1ELj100EEvPKT0_PS1_,comdat
	.protected	_Z6kernelI10flag_tailshLj256ELj3ELb1ELj100EEvPKT0_PS1_ ; -- Begin function _Z6kernelI10flag_tailshLj256ELj3ELb1ELj100EEvPKT0_PS1_
	.globl	_Z6kernelI10flag_tailshLj256ELj3ELb1ELj100EEvPKT0_PS1_
	.p2align	8
	.type	_Z6kernelI10flag_tailshLj256ELj3ELb1ELj100EEvPKT0_PS1_,@function
_Z6kernelI10flag_tailshLj256ELj3ELb1ELj100EEvPKT0_PS1_: ; @_Z6kernelI10flag_tailshLj256ELj3ELb1ELj100EEvPKT0_PS1_
; %bb.0:
	s_load_dwordx4 s[0:3], s[4:5], 0x0
	s_mul_i32 s4, s6, 0x300
	s_movk_i32 s5, 0xff
	v_cmp_ne_u32_e32 vcc, s5, v0
	s_movk_i32 s6, 0x64
	s_waitcnt lgkmcnt(0)
	s_add_u32 s0, s0, s4
	s_addc_u32 s1, s1, 0
	global_load_ubyte v1, v0, s[0:1] offset:256
	global_load_ubyte v2, v0, s[0:1] offset:512
	global_load_ubyte v3, v0, s[0:1]
	s_mov_b32 s0, 0xc0c0004
	s_waitcnt vmcnt(0)
	v_perm_b32 v1, v3, v1, s0
	v_lshl_or_b32 v1, v2, 16, v1
	s_branch .LBB67_2
.LBB67_1:                               ;   in Loop: Header=BB67_2 Depth=1
	s_or_b64 exec, exec, s[0:1]
	v_lshrrev_b32_e32 v3, 8, v1
	v_cmp_eq_u16_sdwa s[0:1], v1, v3 src0_sel:BYTE_0 src1_sel:BYTE_0
	v_and_b32_sdwa v5, v1, s5 dst_sel:DWORD dst_unused:UNUSED_PAD src0_sel:WORD_1 src1_sel:DWORD
	v_cndmask_b32_e64 v4, 0, 1, s[0:1]
	v_cmp_eq_u16_sdwa s[0:1], v3, v5 src0_sel:BYTE_0 src1_sel:DWORD
	v_cndmask_b32_e64 v6, 0, 1, s[0:1]
	s_waitcnt lgkmcnt(0)
	v_cmp_eq_u16_sdwa s[0:1], v5, v2 src0_sel:DWORD src1_sel:BYTE_0
	v_cndmask_b32_e64 v5, 0, 1, s[0:1]
	v_add_u16_e32 v2, v1, v4
	v_add_u16_e32 v3, v3, v6
	v_add_u16_sdwa v4, v1, v5 dst_sel:DWORD dst_unused:UNUSED_PAD src0_sel:WORD_1 src1_sel:DWORD
	v_lshlrev_b16_e32 v1, 8, v3
	v_and_b32_e32 v5, 0xff, v4
	v_or_b32_sdwa v1, v2, v1 dst_sel:DWORD dst_unused:UNUSED_PAD src0_sel:BYTE_0 src1_sel:DWORD
	v_lshlrev_b32_e32 v5, 16, v5
	s_add_i32 s6, s6, -1
	v_or_b32_sdwa v1, v1, v5 dst_sel:DWORD dst_unused:UNUSED_PAD src0_sel:WORD_0 src1_sel:DWORD
	s_cmp_lg_u32 s6, 0
	s_barrier
	s_cbranch_scc0 .LBB67_4
.LBB67_2:                               ; =>This Inner Loop Header: Depth=1
	v_mov_b32_e32 v2, 0x7b
	ds_write_b8 v0, v1 offset:256
	s_waitcnt lgkmcnt(0)
	s_barrier
	s_and_saveexec_b64 s[0:1], vcc
	s_cbranch_execz .LBB67_1
; %bb.3:                                ;   in Loop: Header=BB67_2 Depth=1
	ds_read_u8 v2, v0 offset:257
	s_branch .LBB67_1
.LBB67_4:
	s_add_u32 s0, s2, s4
	s_addc_u32 s1, s3, 0
	v_mov_b32_e32 v1, s1
	v_add_co_u32_e32 v0, vcc, s0, v0
	v_addc_co_u32_e32 v1, vcc, 0, v1, vcc
	global_store_byte v[0:1], v2, off
	global_store_byte v[0:1], v3, off offset:256
	global_store_byte v[0:1], v4, off offset:512
	s_endpgm
	.section	.rodata,"a",@progbits
	.p2align	6, 0x0
	.amdhsa_kernel _Z6kernelI10flag_tailshLj256ELj3ELb1ELj100EEvPKT0_PS1_
		.amdhsa_group_segment_fixed_size 512
		.amdhsa_private_segment_fixed_size 0
		.amdhsa_kernarg_size 16
		.amdhsa_user_sgpr_count 6
		.amdhsa_user_sgpr_private_segment_buffer 1
		.amdhsa_user_sgpr_dispatch_ptr 0
		.amdhsa_user_sgpr_queue_ptr 0
		.amdhsa_user_sgpr_kernarg_segment_ptr 1
		.amdhsa_user_sgpr_dispatch_id 0
		.amdhsa_user_sgpr_flat_scratch_init 0
		.amdhsa_user_sgpr_private_segment_size 0
		.amdhsa_uses_dynamic_stack 0
		.amdhsa_system_sgpr_private_segment_wavefront_offset 0
		.amdhsa_system_sgpr_workgroup_id_x 1
		.amdhsa_system_sgpr_workgroup_id_y 0
		.amdhsa_system_sgpr_workgroup_id_z 0
		.amdhsa_system_sgpr_workgroup_info 0
		.amdhsa_system_vgpr_workitem_id 0
		.amdhsa_next_free_vgpr 7
		.amdhsa_next_free_sgpr 7
		.amdhsa_reserve_vcc 1
		.amdhsa_reserve_flat_scratch 0
		.amdhsa_float_round_mode_32 0
		.amdhsa_float_round_mode_16_64 0
		.amdhsa_float_denorm_mode_32 3
		.amdhsa_float_denorm_mode_16_64 3
		.amdhsa_dx10_clamp 1
		.amdhsa_ieee_mode 1
		.amdhsa_fp16_overflow 0
		.amdhsa_exception_fp_ieee_invalid_op 0
		.amdhsa_exception_fp_denorm_src 0
		.amdhsa_exception_fp_ieee_div_zero 0
		.amdhsa_exception_fp_ieee_overflow 0
		.amdhsa_exception_fp_ieee_underflow 0
		.amdhsa_exception_fp_ieee_inexact 0
		.amdhsa_exception_int_div_zero 0
	.end_amdhsa_kernel
	.section	.text._Z6kernelI10flag_tailshLj256ELj3ELb1ELj100EEvPKT0_PS1_,"axG",@progbits,_Z6kernelI10flag_tailshLj256ELj3ELb1ELj100EEvPKT0_PS1_,comdat
.Lfunc_end67:
	.size	_Z6kernelI10flag_tailshLj256ELj3ELb1ELj100EEvPKT0_PS1_, .Lfunc_end67-_Z6kernelI10flag_tailshLj256ELj3ELb1ELj100EEvPKT0_PS1_
                                        ; -- End function
	.set _Z6kernelI10flag_tailshLj256ELj3ELb1ELj100EEvPKT0_PS1_.num_vgpr, 7
	.set _Z6kernelI10flag_tailshLj256ELj3ELb1ELj100EEvPKT0_PS1_.num_agpr, 0
	.set _Z6kernelI10flag_tailshLj256ELj3ELb1ELj100EEvPKT0_PS1_.numbered_sgpr, 7
	.set _Z6kernelI10flag_tailshLj256ELj3ELb1ELj100EEvPKT0_PS1_.num_named_barrier, 0
	.set _Z6kernelI10flag_tailshLj256ELj3ELb1ELj100EEvPKT0_PS1_.private_seg_size, 0
	.set _Z6kernelI10flag_tailshLj256ELj3ELb1ELj100EEvPKT0_PS1_.uses_vcc, 1
	.set _Z6kernelI10flag_tailshLj256ELj3ELb1ELj100EEvPKT0_PS1_.uses_flat_scratch, 0
	.set _Z6kernelI10flag_tailshLj256ELj3ELb1ELj100EEvPKT0_PS1_.has_dyn_sized_stack, 0
	.set _Z6kernelI10flag_tailshLj256ELj3ELb1ELj100EEvPKT0_PS1_.has_recursion, 0
	.set _Z6kernelI10flag_tailshLj256ELj3ELb1ELj100EEvPKT0_PS1_.has_indirect_call, 0
	.section	.AMDGPU.csdata,"",@progbits
; Kernel info:
; codeLenInByte = 320
; TotalNumSgprs: 11
; NumVgprs: 7
; ScratchSize: 0
; MemoryBound: 0
; FloatMode: 240
; IeeeMode: 1
; LDSByteSize: 512 bytes/workgroup (compile time only)
; SGPRBlocks: 1
; VGPRBlocks: 1
; NumSGPRsForWavesPerEU: 11
; NumVGPRsForWavesPerEU: 7
; Occupancy: 10
; WaveLimiterHint : 1
; COMPUTE_PGM_RSRC2:SCRATCH_EN: 0
; COMPUTE_PGM_RSRC2:USER_SGPR: 6
; COMPUTE_PGM_RSRC2:TRAP_HANDLER: 0
; COMPUTE_PGM_RSRC2:TGID_X_EN: 1
; COMPUTE_PGM_RSRC2:TGID_Y_EN: 0
; COMPUTE_PGM_RSRC2:TGID_Z_EN: 0
; COMPUTE_PGM_RSRC2:TIDIG_COMP_CNT: 0
	.section	.text._Z6kernelI10flag_tailshLj256ELj4ELb1ELj100EEvPKT0_PS1_,"axG",@progbits,_Z6kernelI10flag_tailshLj256ELj4ELb1ELj100EEvPKT0_PS1_,comdat
	.protected	_Z6kernelI10flag_tailshLj256ELj4ELb1ELj100EEvPKT0_PS1_ ; -- Begin function _Z6kernelI10flag_tailshLj256ELj4ELb1ELj100EEvPKT0_PS1_
	.globl	_Z6kernelI10flag_tailshLj256ELj4ELb1ELj100EEvPKT0_PS1_
	.p2align	8
	.type	_Z6kernelI10flag_tailshLj256ELj4ELb1ELj100EEvPKT0_PS1_,@function
_Z6kernelI10flag_tailshLj256ELj4ELb1ELj100EEvPKT0_PS1_: ; @_Z6kernelI10flag_tailshLj256ELj4ELb1ELj100EEvPKT0_PS1_
; %bb.0:
	s_load_dwordx4 s[0:3], s[4:5], 0x0
	s_lshl_b32 s4, s6, 10
	s_movk_i32 s5, 0xff
	v_cmp_ne_u32_e32 vcc, s5, v0
	s_movk_i32 s6, 0x64
	s_waitcnt lgkmcnt(0)
	s_add_u32 s0, s0, s4
	s_addc_u32 s1, s1, 0
	global_load_ubyte v1, v0, s[0:1] offset:256
	global_load_ubyte v2, v0, s[0:1] offset:512
	global_load_ubyte v3, v0, s[0:1]
	global_load_ubyte v4, v0, s[0:1] offset:768
	s_mov_b32 s0, 0xc0c0004
	s_waitcnt vmcnt(1)
	v_perm_b32 v1, v3, v1, s0
	s_waitcnt vmcnt(0)
	v_perm_b32 v2, v2, v4, s0
	v_lshl_or_b32 v1, v2, 16, v1
	s_branch .LBB68_2
.LBB68_1:                               ;   in Loop: Header=BB68_2 Depth=1
	s_or_b64 exec, exec, s[0:1]
	v_lshrrev_b32_e32 v3, 8, v1
	v_cmp_eq_u16_sdwa s[0:1], v1, v3 src0_sel:BYTE_0 src1_sel:BYTE_0
	v_and_b32_sdwa v5, v1, s5 dst_sel:DWORD dst_unused:UNUSED_PAD src0_sel:WORD_1 src1_sel:DWORD
	v_cndmask_b32_e64 v4, 0, 1, s[0:1]
	v_cmp_eq_u16_sdwa s[0:1], v3, v5 src0_sel:BYTE_0 src1_sel:DWORD
	v_cndmask_b32_e64 v6, 0, 1, s[0:1]
	v_cmp_eq_u16_sdwa s[0:1], v5, v1 src0_sel:DWORD src1_sel:BYTE_3
	v_cndmask_b32_e64 v5, 0, 1, s[0:1]
	s_waitcnt lgkmcnt(0)
	v_cmp_eq_u16_sdwa s[0:1], v1, v2 src0_sel:BYTE_3 src1_sel:BYTE_0
	v_cndmask_b32_e64 v7, 0, 1, s[0:1]
	v_add_u16_e32 v2, v1, v4
	v_add_u16_e32 v3, v3, v6
	v_add_u16_sdwa v4, v1, v5 dst_sel:DWORD dst_unused:UNUSED_PAD src0_sel:WORD_1 src1_sel:DWORD
	v_add_u16_sdwa v5, v1, v7 dst_sel:DWORD dst_unused:UNUSED_PAD src0_sel:BYTE_3 src1_sel:DWORD
	v_lshlrev_b16_e32 v1, 8, v3
	v_lshlrev_b16_e32 v6, 8, v5
	v_or_b32_sdwa v1, v2, v1 dst_sel:DWORD dst_unused:UNUSED_PAD src0_sel:BYTE_0 src1_sel:DWORD
	v_or_b32_sdwa v6, v4, v6 dst_sel:WORD_1 dst_unused:UNUSED_PAD src0_sel:BYTE_0 src1_sel:DWORD
	s_add_i32 s6, s6, -1
	v_or_b32_sdwa v1, v1, v6 dst_sel:DWORD dst_unused:UNUSED_PAD src0_sel:WORD_0 src1_sel:DWORD
	s_cmp_lg_u32 s6, 0
	s_barrier
	s_cbranch_scc0 .LBB68_4
.LBB68_2:                               ; =>This Inner Loop Header: Depth=1
	v_mov_b32_e32 v2, 0x7b
	ds_write_b8 v0, v1 offset:256
	s_waitcnt lgkmcnt(0)
	s_barrier
	s_and_saveexec_b64 s[0:1], vcc
	s_cbranch_execz .LBB68_1
; %bb.3:                                ;   in Loop: Header=BB68_2 Depth=1
	ds_read_u8 v2, v0 offset:257
	s_branch .LBB68_1
.LBB68_4:
	s_add_u32 s0, s2, s4
	s_addc_u32 s1, s3, 0
	v_mov_b32_e32 v1, s1
	v_add_co_u32_e32 v0, vcc, s0, v0
	v_addc_co_u32_e32 v1, vcc, 0, v1, vcc
	global_store_byte v[0:1], v2, off
	global_store_byte v[0:1], v3, off offset:256
	global_store_byte v[0:1], v4, off offset:512
	;; [unrolled: 1-line block ×3, first 2 shown]
	s_endpgm
	.section	.rodata,"a",@progbits
	.p2align	6, 0x0
	.amdhsa_kernel _Z6kernelI10flag_tailshLj256ELj4ELb1ELj100EEvPKT0_PS1_
		.amdhsa_group_segment_fixed_size 512
		.amdhsa_private_segment_fixed_size 0
		.amdhsa_kernarg_size 16
		.amdhsa_user_sgpr_count 6
		.amdhsa_user_sgpr_private_segment_buffer 1
		.amdhsa_user_sgpr_dispatch_ptr 0
		.amdhsa_user_sgpr_queue_ptr 0
		.amdhsa_user_sgpr_kernarg_segment_ptr 1
		.amdhsa_user_sgpr_dispatch_id 0
		.amdhsa_user_sgpr_flat_scratch_init 0
		.amdhsa_user_sgpr_private_segment_size 0
		.amdhsa_uses_dynamic_stack 0
		.amdhsa_system_sgpr_private_segment_wavefront_offset 0
		.amdhsa_system_sgpr_workgroup_id_x 1
		.amdhsa_system_sgpr_workgroup_id_y 0
		.amdhsa_system_sgpr_workgroup_id_z 0
		.amdhsa_system_sgpr_workgroup_info 0
		.amdhsa_system_vgpr_workitem_id 0
		.amdhsa_next_free_vgpr 8
		.amdhsa_next_free_sgpr 7
		.amdhsa_reserve_vcc 1
		.amdhsa_reserve_flat_scratch 0
		.amdhsa_float_round_mode_32 0
		.amdhsa_float_round_mode_16_64 0
		.amdhsa_float_denorm_mode_32 3
		.amdhsa_float_denorm_mode_16_64 3
		.amdhsa_dx10_clamp 1
		.amdhsa_ieee_mode 1
		.amdhsa_fp16_overflow 0
		.amdhsa_exception_fp_ieee_invalid_op 0
		.amdhsa_exception_fp_denorm_src 0
		.amdhsa_exception_fp_ieee_div_zero 0
		.amdhsa_exception_fp_ieee_overflow 0
		.amdhsa_exception_fp_ieee_underflow 0
		.amdhsa_exception_fp_ieee_inexact 0
		.amdhsa_exception_int_div_zero 0
	.end_amdhsa_kernel
	.section	.text._Z6kernelI10flag_tailshLj256ELj4ELb1ELj100EEvPKT0_PS1_,"axG",@progbits,_Z6kernelI10flag_tailshLj256ELj4ELb1ELj100EEvPKT0_PS1_,comdat
.Lfunc_end68:
	.size	_Z6kernelI10flag_tailshLj256ELj4ELb1ELj100EEvPKT0_PS1_, .Lfunc_end68-_Z6kernelI10flag_tailshLj256ELj4ELb1ELj100EEvPKT0_PS1_
                                        ; -- End function
	.set _Z6kernelI10flag_tailshLj256ELj4ELb1ELj100EEvPKT0_PS1_.num_vgpr, 8
	.set _Z6kernelI10flag_tailshLj256ELj4ELb1ELj100EEvPKT0_PS1_.num_agpr, 0
	.set _Z6kernelI10flag_tailshLj256ELj4ELb1ELj100EEvPKT0_PS1_.numbered_sgpr, 7
	.set _Z6kernelI10flag_tailshLj256ELj4ELb1ELj100EEvPKT0_PS1_.num_named_barrier, 0
	.set _Z6kernelI10flag_tailshLj256ELj4ELb1ELj100EEvPKT0_PS1_.private_seg_size, 0
	.set _Z6kernelI10flag_tailshLj256ELj4ELb1ELj100EEvPKT0_PS1_.uses_vcc, 1
	.set _Z6kernelI10flag_tailshLj256ELj4ELb1ELj100EEvPKT0_PS1_.uses_flat_scratch, 0
	.set _Z6kernelI10flag_tailshLj256ELj4ELb1ELj100EEvPKT0_PS1_.has_dyn_sized_stack, 0
	.set _Z6kernelI10flag_tailshLj256ELj4ELb1ELj100EEvPKT0_PS1_.has_recursion, 0
	.set _Z6kernelI10flag_tailshLj256ELj4ELb1ELj100EEvPKT0_PS1_.has_indirect_call, 0
	.section	.AMDGPU.csdata,"",@progbits
; Kernel info:
; codeLenInByte = 368
; TotalNumSgprs: 11
; NumVgprs: 8
; ScratchSize: 0
; MemoryBound: 0
; FloatMode: 240
; IeeeMode: 1
; LDSByteSize: 512 bytes/workgroup (compile time only)
; SGPRBlocks: 1
; VGPRBlocks: 1
; NumSGPRsForWavesPerEU: 11
; NumVGPRsForWavesPerEU: 8
; Occupancy: 10
; WaveLimiterHint : 1
; COMPUTE_PGM_RSRC2:SCRATCH_EN: 0
; COMPUTE_PGM_RSRC2:USER_SGPR: 6
; COMPUTE_PGM_RSRC2:TRAP_HANDLER: 0
; COMPUTE_PGM_RSRC2:TGID_X_EN: 1
; COMPUTE_PGM_RSRC2:TGID_Y_EN: 0
; COMPUTE_PGM_RSRC2:TGID_Z_EN: 0
; COMPUTE_PGM_RSRC2:TIDIG_COMP_CNT: 0
	.section	.text._Z6kernelI10flag_tailshLj256ELj8ELb1ELj100EEvPKT0_PS1_,"axG",@progbits,_Z6kernelI10flag_tailshLj256ELj8ELb1ELj100EEvPKT0_PS1_,comdat
	.protected	_Z6kernelI10flag_tailshLj256ELj8ELb1ELj100EEvPKT0_PS1_ ; -- Begin function _Z6kernelI10flag_tailshLj256ELj8ELb1ELj100EEvPKT0_PS1_
	.globl	_Z6kernelI10flag_tailshLj256ELj8ELb1ELj100EEvPKT0_PS1_
	.p2align	8
	.type	_Z6kernelI10flag_tailshLj256ELj8ELb1ELj100EEvPKT0_PS1_,@function
_Z6kernelI10flag_tailshLj256ELj8ELb1ELj100EEvPKT0_PS1_: ; @_Z6kernelI10flag_tailshLj256ELj8ELb1ELj100EEvPKT0_PS1_
; %bb.0:
	s_load_dwordx4 s[0:3], s[4:5], 0x0
	s_lshl_b32 s4, s6, 11
	s_movk_i32 s5, 0xff
	v_cmp_ne_u32_e32 vcc, s5, v0
	s_movk_i32 s6, 0x64
	s_waitcnt lgkmcnt(0)
	s_add_u32 s0, s0, s4
	s_addc_u32 s1, s1, 0
	global_load_ubyte v1, v0, s[0:1] offset:256
	global_load_ubyte v2, v0, s[0:1] offset:1536
	;; [unrolled: 1-line block ×4, first 2 shown]
	global_load_ubyte v5, v0, s[0:1]
	global_load_ubyte v6, v0, s[0:1] offset:768
	global_load_ubyte v7, v0, s[0:1] offset:1280
	;; [unrolled: 1-line block ×3, first 2 shown]
	s_mov_b32 s0, 0xc0c0004
	s_waitcnt vmcnt(3)
	v_perm_b32 v1, v5, v1, s0
	s_waitcnt vmcnt(2)
	v_perm_b32 v4, v4, v6, s0
	;; [unrolled: 2-line block ×4, first 2 shown]
	v_lshl_or_b32 v1, v4, 16, v1
	v_lshl_or_b32 v2, v2, 16, v3
	s_branch .LBB69_2
.LBB69_1:                               ;   in Loop: Header=BB69_2 Depth=1
	s_or_b64 exec, exec, s[0:1]
	v_lshrrev_b32_e32 v4, 8, v1
	v_lshrrev_b64 v[6:7], 24, v[1:2]
	v_and_b32_sdwa v7, v1, s5 dst_sel:DWORD dst_unused:UNUSED_PAD src0_sel:WORD_1 src1_sel:DWORD
	v_cmp_eq_u16_sdwa s[0:1], v1, v4 src0_sel:BYTE_0 src1_sel:BYTE_0
	v_cndmask_b32_e64 v9, 0, 1, s[0:1]
	v_cmp_eq_u16_sdwa s[0:1], v4, v7 src0_sel:BYTE_0 src1_sel:DWORD
	v_cndmask_b32_e64 v10, 0, 1, s[0:1]
	v_cmp_eq_u16_sdwa s[0:1], v7, v6 src0_sel:DWORD src1_sel:BYTE_0
	v_lshrrev_b32_e32 v8, 8, v2
	v_cndmask_b32_e64 v7, 0, 1, s[0:1]
	v_cmp_eq_u16_sdwa s[0:1], v6, v2 src0_sel:BYTE_0 src1_sel:BYTE_0
	v_and_b32_sdwa v5, v2, s5 dst_sel:DWORD dst_unused:UNUSED_PAD src0_sel:WORD_1 src1_sel:DWORD
	v_cndmask_b32_e64 v11, 0, 1, s[0:1]
	v_cmp_eq_u16_sdwa s[0:1], v2, v8 src0_sel:BYTE_0 src1_sel:BYTE_0
	v_cndmask_b32_e64 v12, 0, 1, s[0:1]
	v_cmp_eq_u16_sdwa s[0:1], v8, v5 src0_sel:BYTE_0 src1_sel:DWORD
	v_cndmask_b32_e64 v13, 0, 1, s[0:1]
	v_cmp_eq_u16_sdwa s[0:1], v5, v2 src0_sel:DWORD src1_sel:BYTE_3
	v_cndmask_b32_e64 v14, 0, 1, s[0:1]
	s_waitcnt lgkmcnt(0)
	v_cmp_eq_u16_sdwa s[0:1], v2, v3 src0_sel:BYTE_3 src1_sel:BYTE_0
	v_cndmask_b32_e64 v15, 0, 1, s[0:1]
	v_add_u16_e32 v4, v4, v10
	v_add_u16_e32 v6, v6, v11
	v_add_u16_e32 v3, v1, v9
	v_add_u16_sdwa v5, v1, v7 dst_sel:DWORD dst_unused:UNUSED_PAD src0_sel:WORD_1 src1_sel:DWORD
	v_add_u16_e32 v7, v2, v12
	v_add_u16_sdwa v9, v2, v14 dst_sel:DWORD dst_unused:UNUSED_PAD src0_sel:WORD_1 src1_sel:DWORD
	v_add_u16_sdwa v10, v2, v15 dst_sel:DWORD dst_unused:UNUSED_PAD src0_sel:BYTE_3 src1_sel:DWORD
	v_lshlrev_b16_e32 v1, 8, v4
	v_lshlrev_b16_e32 v2, 8, v6
	v_add_u16_e32 v8, v8, v13
	v_or_b32_sdwa v1, v3, v1 dst_sel:DWORD dst_unused:UNUSED_PAD src0_sel:BYTE_0 src1_sel:DWORD
	v_or_b32_sdwa v2, v5, v2 dst_sel:WORD_1 dst_unused:UNUSED_PAD src0_sel:BYTE_0 src1_sel:DWORD
	v_or_b32_sdwa v1, v1, v2 dst_sel:DWORD dst_unused:UNUSED_PAD src0_sel:WORD_0 src1_sel:DWORD
	v_lshlrev_b16_e32 v2, 8, v8
	v_lshlrev_b16_e32 v11, 8, v10
	v_or_b32_sdwa v2, v7, v2 dst_sel:DWORD dst_unused:UNUSED_PAD src0_sel:BYTE_0 src1_sel:DWORD
	v_or_b32_sdwa v11, v9, v11 dst_sel:WORD_1 dst_unused:UNUSED_PAD src0_sel:BYTE_0 src1_sel:DWORD
	s_add_i32 s6, s6, -1
	s_cmp_lg_u32 s6, 0
	v_or_b32_sdwa v2, v2, v11 dst_sel:DWORD dst_unused:UNUSED_PAD src0_sel:WORD_0 src1_sel:DWORD
	s_barrier
	s_cbranch_scc0 .LBB69_4
.LBB69_2:                               ; =>This Inner Loop Header: Depth=1
	v_mov_b32_e32 v3, 0x7b
	ds_write_b8 v0, v1 offset:256
	s_waitcnt lgkmcnt(0)
	s_barrier
	s_and_saveexec_b64 s[0:1], vcc
	s_cbranch_execz .LBB69_1
; %bb.3:                                ;   in Loop: Header=BB69_2 Depth=1
	ds_read_u8 v3, v0 offset:257
	s_branch .LBB69_1
.LBB69_4:
	s_add_u32 s0, s2, s4
	s_addc_u32 s1, s3, 0
	v_mov_b32_e32 v1, s1
	v_add_co_u32_e32 v0, vcc, s0, v0
	v_addc_co_u32_e32 v1, vcc, 0, v1, vcc
	global_store_byte v[0:1], v3, off
	global_store_byte v[0:1], v4, off offset:256
	global_store_byte v[0:1], v5, off offset:512
	;; [unrolled: 1-line block ×7, first 2 shown]
	s_endpgm
	.section	.rodata,"a",@progbits
	.p2align	6, 0x0
	.amdhsa_kernel _Z6kernelI10flag_tailshLj256ELj8ELb1ELj100EEvPKT0_PS1_
		.amdhsa_group_segment_fixed_size 512
		.amdhsa_private_segment_fixed_size 0
		.amdhsa_kernarg_size 16
		.amdhsa_user_sgpr_count 6
		.amdhsa_user_sgpr_private_segment_buffer 1
		.amdhsa_user_sgpr_dispatch_ptr 0
		.amdhsa_user_sgpr_queue_ptr 0
		.amdhsa_user_sgpr_kernarg_segment_ptr 1
		.amdhsa_user_sgpr_dispatch_id 0
		.amdhsa_user_sgpr_flat_scratch_init 0
		.amdhsa_user_sgpr_private_segment_size 0
		.amdhsa_uses_dynamic_stack 0
		.amdhsa_system_sgpr_private_segment_wavefront_offset 0
		.amdhsa_system_sgpr_workgroup_id_x 1
		.amdhsa_system_sgpr_workgroup_id_y 0
		.amdhsa_system_sgpr_workgroup_id_z 0
		.amdhsa_system_sgpr_workgroup_info 0
		.amdhsa_system_vgpr_workitem_id 0
		.amdhsa_next_free_vgpr 16
		.amdhsa_next_free_sgpr 7
		.amdhsa_reserve_vcc 1
		.amdhsa_reserve_flat_scratch 0
		.amdhsa_float_round_mode_32 0
		.amdhsa_float_round_mode_16_64 0
		.amdhsa_float_denorm_mode_32 3
		.amdhsa_float_denorm_mode_16_64 3
		.amdhsa_dx10_clamp 1
		.amdhsa_ieee_mode 1
		.amdhsa_fp16_overflow 0
		.amdhsa_exception_fp_ieee_invalid_op 0
		.amdhsa_exception_fp_denorm_src 0
		.amdhsa_exception_fp_ieee_div_zero 0
		.amdhsa_exception_fp_ieee_overflow 0
		.amdhsa_exception_fp_ieee_underflow 0
		.amdhsa_exception_fp_ieee_inexact 0
		.amdhsa_exception_int_div_zero 0
	.end_amdhsa_kernel
	.section	.text._Z6kernelI10flag_tailshLj256ELj8ELb1ELj100EEvPKT0_PS1_,"axG",@progbits,_Z6kernelI10flag_tailshLj256ELj8ELb1ELj100EEvPKT0_PS1_,comdat
.Lfunc_end69:
	.size	_Z6kernelI10flag_tailshLj256ELj8ELb1ELj100EEvPKT0_PS1_, .Lfunc_end69-_Z6kernelI10flag_tailshLj256ELj8ELb1ELj100EEvPKT0_PS1_
                                        ; -- End function
	.set _Z6kernelI10flag_tailshLj256ELj8ELb1ELj100EEvPKT0_PS1_.num_vgpr, 16
	.set _Z6kernelI10flag_tailshLj256ELj8ELb1ELj100EEvPKT0_PS1_.num_agpr, 0
	.set _Z6kernelI10flag_tailshLj256ELj8ELb1ELj100EEvPKT0_PS1_.numbered_sgpr, 7
	.set _Z6kernelI10flag_tailshLj256ELj8ELb1ELj100EEvPKT0_PS1_.num_named_barrier, 0
	.set _Z6kernelI10flag_tailshLj256ELj8ELb1ELj100EEvPKT0_PS1_.private_seg_size, 0
	.set _Z6kernelI10flag_tailshLj256ELj8ELb1ELj100EEvPKT0_PS1_.uses_vcc, 1
	.set _Z6kernelI10flag_tailshLj256ELj8ELb1ELj100EEvPKT0_PS1_.uses_flat_scratch, 0
	.set _Z6kernelI10flag_tailshLj256ELj8ELb1ELj100EEvPKT0_PS1_.has_dyn_sized_stack, 0
	.set _Z6kernelI10flag_tailshLj256ELj8ELb1ELj100EEvPKT0_PS1_.has_recursion, 0
	.set _Z6kernelI10flag_tailshLj256ELj8ELb1ELj100EEvPKT0_PS1_.has_indirect_call, 0
	.section	.AMDGPU.csdata,"",@progbits
; Kernel info:
; codeLenInByte = 600
; TotalNumSgprs: 11
; NumVgprs: 16
; ScratchSize: 0
; MemoryBound: 0
; FloatMode: 240
; IeeeMode: 1
; LDSByteSize: 512 bytes/workgroup (compile time only)
; SGPRBlocks: 1
; VGPRBlocks: 3
; NumSGPRsForWavesPerEU: 11
; NumVGPRsForWavesPerEU: 16
; Occupancy: 10
; WaveLimiterHint : 1
; COMPUTE_PGM_RSRC2:SCRATCH_EN: 0
; COMPUTE_PGM_RSRC2:USER_SGPR: 6
; COMPUTE_PGM_RSRC2:TRAP_HANDLER: 0
; COMPUTE_PGM_RSRC2:TGID_X_EN: 1
; COMPUTE_PGM_RSRC2:TGID_Y_EN: 0
; COMPUTE_PGM_RSRC2:TGID_Z_EN: 0
; COMPUTE_PGM_RSRC2:TIDIG_COMP_CNT: 0
	.section	.text._Z6kernelI10flag_tailsxLj256ELj1ELb0ELj100EEvPKT0_PS1_,"axG",@progbits,_Z6kernelI10flag_tailsxLj256ELj1ELb0ELj100EEvPKT0_PS1_,comdat
	.protected	_Z6kernelI10flag_tailsxLj256ELj1ELb0ELj100EEvPKT0_PS1_ ; -- Begin function _Z6kernelI10flag_tailsxLj256ELj1ELb0ELj100EEvPKT0_PS1_
	.globl	_Z6kernelI10flag_tailsxLj256ELj1ELb0ELj100EEvPKT0_PS1_
	.p2align	8
	.type	_Z6kernelI10flag_tailsxLj256ELj1ELb0ELj100EEvPKT0_PS1_,@function
_Z6kernelI10flag_tailsxLj256ELj1ELb0ELj100EEvPKT0_PS1_: ; @_Z6kernelI10flag_tailsxLj256ELj1ELb0ELj100EEvPKT0_PS1_
; %bb.0:
	s_load_dwordx4 s[0:3], s[4:5], 0x0
	s_lshl_b32 s4, s6, 8
	s_mov_b32 s5, 0
	s_lshl_b64 s[6:7], s[4:5], 3
	v_lshlrev_b32_e32 v5, 3, v0
	s_waitcnt lgkmcnt(0)
	s_add_u32 s0, s0, s6
	s_addc_u32 s1, s1, s7
	global_load_dwordx2 v[1:2], v5, s[0:1]
	s_movk_i32 s0, 0xff
	v_cmp_ne_u32_e32 vcc, s0, v0
	s_movk_i32 s4, 0x64
	s_branch .LBB70_2
.LBB70_1:                               ;   in Loop: Header=BB70_2 Depth=1
	s_or_b64 exec, exec, s[8:9]
	v_add_co_u32_e64 v1, s[0:1], v3, v1
	s_add_i32 s4, s4, -1
	v_addc_co_u32_e64 v2, s[0:1], v4, v2, s[0:1]
	s_cmp_lg_u32 s4, 0
	s_barrier
	s_cbranch_scc0 .LBB70_4
.LBB70_2:                               ; =>This Inner Loop Header: Depth=1
	v_mov_b32_e32 v3, 1
	v_mov_b32_e32 v4, 0
	s_waitcnt vmcnt(0)
	ds_write_b64 v5, v[1:2] offset:2048
	s_waitcnt lgkmcnt(0)
	s_barrier
	s_and_saveexec_b64 s[8:9], vcc
	s_cbranch_execz .LBB70_1
; %bb.3:                                ;   in Loop: Header=BB70_2 Depth=1
	ds_read_b64 v[3:4], v5 offset:2056
	s_waitcnt lgkmcnt(0)
	v_cmp_eq_u64_e64 s[0:1], v[1:2], v[3:4]
	v_mov_b32_e32 v4, s5
	v_cndmask_b32_e64 v3, 0, 1, s[0:1]
	s_branch .LBB70_1
.LBB70_4:
	s_add_u32 s0, s2, s6
	s_addc_u32 s1, s3, s7
	v_lshlrev_b32_e32 v0, 3, v0
	global_store_dwordx2 v0, v[1:2], s[0:1]
	s_endpgm
	.section	.rodata,"a",@progbits
	.p2align	6, 0x0
	.amdhsa_kernel _Z6kernelI10flag_tailsxLj256ELj1ELb0ELj100EEvPKT0_PS1_
		.amdhsa_group_segment_fixed_size 4096
		.amdhsa_private_segment_fixed_size 0
		.amdhsa_kernarg_size 16
		.amdhsa_user_sgpr_count 6
		.amdhsa_user_sgpr_private_segment_buffer 1
		.amdhsa_user_sgpr_dispatch_ptr 0
		.amdhsa_user_sgpr_queue_ptr 0
		.amdhsa_user_sgpr_kernarg_segment_ptr 1
		.amdhsa_user_sgpr_dispatch_id 0
		.amdhsa_user_sgpr_flat_scratch_init 0
		.amdhsa_user_sgpr_private_segment_size 0
		.amdhsa_uses_dynamic_stack 0
		.amdhsa_system_sgpr_private_segment_wavefront_offset 0
		.amdhsa_system_sgpr_workgroup_id_x 1
		.amdhsa_system_sgpr_workgroup_id_y 0
		.amdhsa_system_sgpr_workgroup_id_z 0
		.amdhsa_system_sgpr_workgroup_info 0
		.amdhsa_system_vgpr_workitem_id 0
		.amdhsa_next_free_vgpr 6
		.amdhsa_next_free_sgpr 10
		.amdhsa_reserve_vcc 1
		.amdhsa_reserve_flat_scratch 0
		.amdhsa_float_round_mode_32 0
		.amdhsa_float_round_mode_16_64 0
		.amdhsa_float_denorm_mode_32 3
		.amdhsa_float_denorm_mode_16_64 3
		.amdhsa_dx10_clamp 1
		.amdhsa_ieee_mode 1
		.amdhsa_fp16_overflow 0
		.amdhsa_exception_fp_ieee_invalid_op 0
		.amdhsa_exception_fp_denorm_src 0
		.amdhsa_exception_fp_ieee_div_zero 0
		.amdhsa_exception_fp_ieee_overflow 0
		.amdhsa_exception_fp_ieee_underflow 0
		.amdhsa_exception_fp_ieee_inexact 0
		.amdhsa_exception_int_div_zero 0
	.end_amdhsa_kernel
	.section	.text._Z6kernelI10flag_tailsxLj256ELj1ELb0ELj100EEvPKT0_PS1_,"axG",@progbits,_Z6kernelI10flag_tailsxLj256ELj1ELb0ELj100EEvPKT0_PS1_,comdat
.Lfunc_end70:
	.size	_Z6kernelI10flag_tailsxLj256ELj1ELb0ELj100EEvPKT0_PS1_, .Lfunc_end70-_Z6kernelI10flag_tailsxLj256ELj1ELb0ELj100EEvPKT0_PS1_
                                        ; -- End function
	.set _Z6kernelI10flag_tailsxLj256ELj1ELb0ELj100EEvPKT0_PS1_.num_vgpr, 6
	.set _Z6kernelI10flag_tailsxLj256ELj1ELb0ELj100EEvPKT0_PS1_.num_agpr, 0
	.set _Z6kernelI10flag_tailsxLj256ELj1ELb0ELj100EEvPKT0_PS1_.numbered_sgpr, 10
	.set _Z6kernelI10flag_tailsxLj256ELj1ELb0ELj100EEvPKT0_PS1_.num_named_barrier, 0
	.set _Z6kernelI10flag_tailsxLj256ELj1ELb0ELj100EEvPKT0_PS1_.private_seg_size, 0
	.set _Z6kernelI10flag_tailsxLj256ELj1ELb0ELj100EEvPKT0_PS1_.uses_vcc, 1
	.set _Z6kernelI10flag_tailsxLj256ELj1ELb0ELj100EEvPKT0_PS1_.uses_flat_scratch, 0
	.set _Z6kernelI10flag_tailsxLj256ELj1ELb0ELj100EEvPKT0_PS1_.has_dyn_sized_stack, 0
	.set _Z6kernelI10flag_tailsxLj256ELj1ELb0ELj100EEvPKT0_PS1_.has_recursion, 0
	.set _Z6kernelI10flag_tailsxLj256ELj1ELb0ELj100EEvPKT0_PS1_.has_indirect_call, 0
	.section	.AMDGPU.csdata,"",@progbits
; Kernel info:
; codeLenInByte = 192
; TotalNumSgprs: 14
; NumVgprs: 6
; ScratchSize: 0
; MemoryBound: 0
; FloatMode: 240
; IeeeMode: 1
; LDSByteSize: 4096 bytes/workgroup (compile time only)
; SGPRBlocks: 1
; VGPRBlocks: 1
; NumSGPRsForWavesPerEU: 14
; NumVGPRsForWavesPerEU: 6
; Occupancy: 10
; WaveLimiterHint : 0
; COMPUTE_PGM_RSRC2:SCRATCH_EN: 0
; COMPUTE_PGM_RSRC2:USER_SGPR: 6
; COMPUTE_PGM_RSRC2:TRAP_HANDLER: 0
; COMPUTE_PGM_RSRC2:TGID_X_EN: 1
; COMPUTE_PGM_RSRC2:TGID_Y_EN: 0
; COMPUTE_PGM_RSRC2:TGID_Z_EN: 0
; COMPUTE_PGM_RSRC2:TIDIG_COMP_CNT: 0
	.section	.text._Z6kernelI10flag_tailsxLj256ELj2ELb0ELj100EEvPKT0_PS1_,"axG",@progbits,_Z6kernelI10flag_tailsxLj256ELj2ELb0ELj100EEvPKT0_PS1_,comdat
	.protected	_Z6kernelI10flag_tailsxLj256ELj2ELb0ELj100EEvPKT0_PS1_ ; -- Begin function _Z6kernelI10flag_tailsxLj256ELj2ELb0ELj100EEvPKT0_PS1_
	.globl	_Z6kernelI10flag_tailsxLj256ELj2ELb0ELj100EEvPKT0_PS1_
	.p2align	8
	.type	_Z6kernelI10flag_tailsxLj256ELj2ELb0ELj100EEvPKT0_PS1_,@function
_Z6kernelI10flag_tailsxLj256ELj2ELb0ELj100EEvPKT0_PS1_: ; @_Z6kernelI10flag_tailsxLj256ELj2ELb0ELj100EEvPKT0_PS1_
; %bb.0:
	s_load_dwordx4 s[8:11], s[4:5], 0x0
	s_lshl_b32 s0, s6, 9
	s_mov_b32 s1, 0
	s_lshl_b64 s[4:5], s[0:1], 3
	v_lshlrev_b32_e32 v5, 3, v0
	s_waitcnt lgkmcnt(0)
	s_add_u32 s0, s8, s4
	s_addc_u32 s1, s9, s5
	global_load_dwordx2 v[1:2], v5, s[0:1]
	global_load_dwordx2 v[3:4], v5, s[0:1] offset:2048
	s_movk_i32 s0, 0xff
	v_cmp_ne_u32_e64 s[0:1], s0, v0
	s_movk_i32 s8, 0x64
	s_branch .LBB71_2
.LBB71_1:                               ;   in Loop: Header=BB71_2 Depth=1
	s_or_b64 exec, exec, s[6:7]
	v_cndmask_b32_e64 v7, 0, 1, vcc
	v_add_co_u32_sdwa v1, vcc, v1, v7 dst_sel:DWORD dst_unused:UNUSED_PAD src0_sel:DWORD src1_sel:BYTE_0
	v_addc_co_u32_e32 v2, vcc, 0, v2, vcc
	v_add_co_u32_sdwa v3, vcc, v3, v6 dst_sel:DWORD dst_unused:UNUSED_PAD src0_sel:DWORD src1_sel:BYTE_0
	s_add_i32 s8, s8, -1
	v_addc_co_u32_e32 v4, vcc, 0, v4, vcc
	s_cmp_lg_u32 s8, 0
	s_barrier
	s_cbranch_scc0 .LBB71_4
.LBB71_2:                               ; =>This Inner Loop Header: Depth=1
	s_waitcnt vmcnt(0)
	v_cmp_eq_u64_e32 vcc, v[1:2], v[3:4]
	v_mov_b32_e32 v6, 1
	ds_write_b64 v5, v[1:2] offset:2048
	s_waitcnt lgkmcnt(0)
	s_barrier
	s_and_saveexec_b64 s[6:7], s[0:1]
	s_cbranch_execz .LBB71_1
; %bb.3:                                ;   in Loop: Header=BB71_2 Depth=1
	ds_read_b64 v[6:7], v5 offset:2056
	s_waitcnt lgkmcnt(0)
	v_cmp_eq_u64_e64 s[2:3], v[3:4], v[6:7]
	v_cndmask_b32_e64 v6, 0, 1, s[2:3]
	s_branch .LBB71_1
.LBB71_4:
	s_add_u32 s0, s10, s4
	s_addc_u32 s1, s11, s5
	v_lshlrev_b32_e32 v0, 3, v0
	global_store_dwordx2 v0, v[1:2], s[0:1]
	global_store_dwordx2 v0, v[3:4], s[0:1] offset:2048
	s_endpgm
	.section	.rodata,"a",@progbits
	.p2align	6, 0x0
	.amdhsa_kernel _Z6kernelI10flag_tailsxLj256ELj2ELb0ELj100EEvPKT0_PS1_
		.amdhsa_group_segment_fixed_size 4096
		.amdhsa_private_segment_fixed_size 0
		.amdhsa_kernarg_size 16
		.amdhsa_user_sgpr_count 6
		.amdhsa_user_sgpr_private_segment_buffer 1
		.amdhsa_user_sgpr_dispatch_ptr 0
		.amdhsa_user_sgpr_queue_ptr 0
		.amdhsa_user_sgpr_kernarg_segment_ptr 1
		.amdhsa_user_sgpr_dispatch_id 0
		.amdhsa_user_sgpr_flat_scratch_init 0
		.amdhsa_user_sgpr_private_segment_size 0
		.amdhsa_uses_dynamic_stack 0
		.amdhsa_system_sgpr_private_segment_wavefront_offset 0
		.amdhsa_system_sgpr_workgroup_id_x 1
		.amdhsa_system_sgpr_workgroup_id_y 0
		.amdhsa_system_sgpr_workgroup_id_z 0
		.amdhsa_system_sgpr_workgroup_info 0
		.amdhsa_system_vgpr_workitem_id 0
		.amdhsa_next_free_vgpr 8
		.amdhsa_next_free_sgpr 12
		.amdhsa_reserve_vcc 1
		.amdhsa_reserve_flat_scratch 0
		.amdhsa_float_round_mode_32 0
		.amdhsa_float_round_mode_16_64 0
		.amdhsa_float_denorm_mode_32 3
		.amdhsa_float_denorm_mode_16_64 3
		.amdhsa_dx10_clamp 1
		.amdhsa_ieee_mode 1
		.amdhsa_fp16_overflow 0
		.amdhsa_exception_fp_ieee_invalid_op 0
		.amdhsa_exception_fp_denorm_src 0
		.amdhsa_exception_fp_ieee_div_zero 0
		.amdhsa_exception_fp_ieee_overflow 0
		.amdhsa_exception_fp_ieee_underflow 0
		.amdhsa_exception_fp_ieee_inexact 0
		.amdhsa_exception_int_div_zero 0
	.end_amdhsa_kernel
	.section	.text._Z6kernelI10flag_tailsxLj256ELj2ELb0ELj100EEvPKT0_PS1_,"axG",@progbits,_Z6kernelI10flag_tailsxLj256ELj2ELb0ELj100EEvPKT0_PS1_,comdat
.Lfunc_end71:
	.size	_Z6kernelI10flag_tailsxLj256ELj2ELb0ELj100EEvPKT0_PS1_, .Lfunc_end71-_Z6kernelI10flag_tailsxLj256ELj2ELb0ELj100EEvPKT0_PS1_
                                        ; -- End function
	.set _Z6kernelI10flag_tailsxLj256ELj2ELb0ELj100EEvPKT0_PS1_.num_vgpr, 8
	.set _Z6kernelI10flag_tailsxLj256ELj2ELb0ELj100EEvPKT0_PS1_.num_agpr, 0
	.set _Z6kernelI10flag_tailsxLj256ELj2ELb0ELj100EEvPKT0_PS1_.numbered_sgpr, 12
	.set _Z6kernelI10flag_tailsxLj256ELj2ELb0ELj100EEvPKT0_PS1_.num_named_barrier, 0
	.set _Z6kernelI10flag_tailsxLj256ELj2ELb0ELj100EEvPKT0_PS1_.private_seg_size, 0
	.set _Z6kernelI10flag_tailsxLj256ELj2ELb0ELj100EEvPKT0_PS1_.uses_vcc, 1
	.set _Z6kernelI10flag_tailsxLj256ELj2ELb0ELj100EEvPKT0_PS1_.uses_flat_scratch, 0
	.set _Z6kernelI10flag_tailsxLj256ELj2ELb0ELj100EEvPKT0_PS1_.has_dyn_sized_stack, 0
	.set _Z6kernelI10flag_tailsxLj256ELj2ELb0ELj100EEvPKT0_PS1_.has_recursion, 0
	.set _Z6kernelI10flag_tailsxLj256ELj2ELb0ELj100EEvPKT0_PS1_.has_indirect_call, 0
	.section	.AMDGPU.csdata,"",@progbits
; Kernel info:
; codeLenInByte = 224
; TotalNumSgprs: 16
; NumVgprs: 8
; ScratchSize: 0
; MemoryBound: 0
; FloatMode: 240
; IeeeMode: 1
; LDSByteSize: 4096 bytes/workgroup (compile time only)
; SGPRBlocks: 1
; VGPRBlocks: 1
; NumSGPRsForWavesPerEU: 16
; NumVGPRsForWavesPerEU: 8
; Occupancy: 10
; WaveLimiterHint : 1
; COMPUTE_PGM_RSRC2:SCRATCH_EN: 0
; COMPUTE_PGM_RSRC2:USER_SGPR: 6
; COMPUTE_PGM_RSRC2:TRAP_HANDLER: 0
; COMPUTE_PGM_RSRC2:TGID_X_EN: 1
; COMPUTE_PGM_RSRC2:TGID_Y_EN: 0
; COMPUTE_PGM_RSRC2:TGID_Z_EN: 0
; COMPUTE_PGM_RSRC2:TIDIG_COMP_CNT: 0
	.section	.text._Z6kernelI10flag_tailsxLj256ELj3ELb0ELj100EEvPKT0_PS1_,"axG",@progbits,_Z6kernelI10flag_tailsxLj256ELj3ELb0ELj100EEvPKT0_PS1_,comdat
	.protected	_Z6kernelI10flag_tailsxLj256ELj3ELb0ELj100EEvPKT0_PS1_ ; -- Begin function _Z6kernelI10flag_tailsxLj256ELj3ELb0ELj100EEvPKT0_PS1_
	.globl	_Z6kernelI10flag_tailsxLj256ELj3ELb0ELj100EEvPKT0_PS1_
	.p2align	8
	.type	_Z6kernelI10flag_tailsxLj256ELj3ELb0ELj100EEvPKT0_PS1_,@function
_Z6kernelI10flag_tailsxLj256ELj3ELb0ELj100EEvPKT0_PS1_: ; @_Z6kernelI10flag_tailsxLj256ELj3ELb0ELj100EEvPKT0_PS1_
; %bb.0:
	s_load_dwordx4 s[8:11], s[4:5], 0x0
	s_mul_i32 s0, s6, 0x300
	s_mov_b32 s1, 0
	s_lshl_b64 s[6:7], s[0:1], 3
	v_lshlrev_b32_e32 v7, 3, v0
	s_waitcnt lgkmcnt(0)
	s_add_u32 s0, s8, s6
	s_addc_u32 s1, s9, s7
	v_mov_b32_e32 v1, s1
	v_add_co_u32_e32 v2, vcc, s0, v7
	v_addc_co_u32_e32 v1, vcc, 0, v1, vcc
	v_add_co_u32_e32 v8, vcc, 0x1000, v2
	v_addc_co_u32_e32 v9, vcc, 0, v1, vcc
	global_load_dwordx2 v[5:6], v7, s[0:1]
	global_load_dwordx2 v[3:4], v7, s[0:1] offset:2048
	global_load_dwordx2 v[1:2], v[8:9], off
	s_movk_i32 s0, 0xff
	v_cmp_ne_u32_e64 s[0:1], s0, v0
	s_movk_i32 s12, 0x64
	s_branch .LBB72_2
.LBB72_1:                               ;   in Loop: Header=BB72_2 Depth=1
	s_or_b64 exec, exec, s[8:9]
	v_cndmask_b32_e64 v10, 0, 1, vcc
	v_add_co_u32_sdwa v5, vcc, v5, v10 dst_sel:DWORD dst_unused:UNUSED_PAD src0_sel:DWORD src1_sel:BYTE_0
	v_cndmask_b32_e64 v9, 0, 1, s[2:3]
	v_addc_co_u32_e32 v6, vcc, 0, v6, vcc
	v_add_co_u32_sdwa v3, vcc, v3, v9 dst_sel:DWORD dst_unused:UNUSED_PAD src0_sel:DWORD src1_sel:BYTE_0
	v_addc_co_u32_e32 v4, vcc, 0, v4, vcc
	v_add_co_u32_sdwa v1, vcc, v1, v8 dst_sel:DWORD dst_unused:UNUSED_PAD src0_sel:DWORD src1_sel:BYTE_0
	s_add_i32 s12, s12, -1
	v_addc_co_u32_e32 v2, vcc, 0, v2, vcc
	s_cmp_lg_u32 s12, 0
	s_barrier
	s_cbranch_scc0 .LBB72_4
.LBB72_2:                               ; =>This Inner Loop Header: Depth=1
	s_waitcnt vmcnt(1)
	v_cmp_eq_u64_e32 vcc, v[5:6], v[3:4]
	s_waitcnt vmcnt(0)
	v_cmp_eq_u64_e64 s[2:3], v[3:4], v[1:2]
	v_mov_b32_e32 v8, 1
	ds_write_b64 v7, v[5:6] offset:2048
	s_waitcnt lgkmcnt(0)
	s_barrier
	s_and_saveexec_b64 s[8:9], s[0:1]
	s_cbranch_execz .LBB72_1
; %bb.3:                                ;   in Loop: Header=BB72_2 Depth=1
	ds_read_b64 v[8:9], v7 offset:2056
	s_waitcnt lgkmcnt(0)
	v_cmp_eq_u64_e64 s[4:5], v[1:2], v[8:9]
	v_cndmask_b32_e64 v8, 0, 1, s[4:5]
	s_branch .LBB72_1
.LBB72_4:
	s_add_u32 s0, s10, s6
	s_addc_u32 s1, s11, s7
	v_lshlrev_b32_e32 v0, 3, v0
	v_mov_b32_e32 v7, s1
	v_add_co_u32_e32 v8, vcc, s0, v0
	v_addc_co_u32_e32 v7, vcc, 0, v7, vcc
	global_store_dwordx2 v0, v[5:6], s[0:1]
	global_store_dwordx2 v0, v[3:4], s[0:1] offset:2048
	v_add_co_u32_e32 v3, vcc, 0x1000, v8
	v_addc_co_u32_e32 v4, vcc, 0, v7, vcc
	global_store_dwordx2 v[3:4], v[1:2], off
	s_endpgm
	.section	.rodata,"a",@progbits
	.p2align	6, 0x0
	.amdhsa_kernel _Z6kernelI10flag_tailsxLj256ELj3ELb0ELj100EEvPKT0_PS1_
		.amdhsa_group_segment_fixed_size 4096
		.amdhsa_private_segment_fixed_size 0
		.amdhsa_kernarg_size 16
		.amdhsa_user_sgpr_count 6
		.amdhsa_user_sgpr_private_segment_buffer 1
		.amdhsa_user_sgpr_dispatch_ptr 0
		.amdhsa_user_sgpr_queue_ptr 0
		.amdhsa_user_sgpr_kernarg_segment_ptr 1
		.amdhsa_user_sgpr_dispatch_id 0
		.amdhsa_user_sgpr_flat_scratch_init 0
		.amdhsa_user_sgpr_private_segment_size 0
		.amdhsa_uses_dynamic_stack 0
		.amdhsa_system_sgpr_private_segment_wavefront_offset 0
		.amdhsa_system_sgpr_workgroup_id_x 1
		.amdhsa_system_sgpr_workgroup_id_y 0
		.amdhsa_system_sgpr_workgroup_id_z 0
		.amdhsa_system_sgpr_workgroup_info 0
		.amdhsa_system_vgpr_workitem_id 0
		.amdhsa_next_free_vgpr 11
		.amdhsa_next_free_sgpr 13
		.amdhsa_reserve_vcc 1
		.amdhsa_reserve_flat_scratch 0
		.amdhsa_float_round_mode_32 0
		.amdhsa_float_round_mode_16_64 0
		.amdhsa_float_denorm_mode_32 3
		.amdhsa_float_denorm_mode_16_64 3
		.amdhsa_dx10_clamp 1
		.amdhsa_ieee_mode 1
		.amdhsa_fp16_overflow 0
		.amdhsa_exception_fp_ieee_invalid_op 0
		.amdhsa_exception_fp_denorm_src 0
		.amdhsa_exception_fp_ieee_div_zero 0
		.amdhsa_exception_fp_ieee_overflow 0
		.amdhsa_exception_fp_ieee_underflow 0
		.amdhsa_exception_fp_ieee_inexact 0
		.amdhsa_exception_int_div_zero 0
	.end_amdhsa_kernel
	.section	.text._Z6kernelI10flag_tailsxLj256ELj3ELb0ELj100EEvPKT0_PS1_,"axG",@progbits,_Z6kernelI10flag_tailsxLj256ELj3ELb0ELj100EEvPKT0_PS1_,comdat
.Lfunc_end72:
	.size	_Z6kernelI10flag_tailsxLj256ELj3ELb0ELj100EEvPKT0_PS1_, .Lfunc_end72-_Z6kernelI10flag_tailsxLj256ELj3ELb0ELj100EEvPKT0_PS1_
                                        ; -- End function
	.set _Z6kernelI10flag_tailsxLj256ELj3ELb0ELj100EEvPKT0_PS1_.num_vgpr, 11
	.set _Z6kernelI10flag_tailsxLj256ELj3ELb0ELj100EEvPKT0_PS1_.num_agpr, 0
	.set _Z6kernelI10flag_tailsxLj256ELj3ELb0ELj100EEvPKT0_PS1_.numbered_sgpr, 13
	.set _Z6kernelI10flag_tailsxLj256ELj3ELb0ELj100EEvPKT0_PS1_.num_named_barrier, 0
	.set _Z6kernelI10flag_tailsxLj256ELj3ELb0ELj100EEvPKT0_PS1_.private_seg_size, 0
	.set _Z6kernelI10flag_tailsxLj256ELj3ELb0ELj100EEvPKT0_PS1_.uses_vcc, 1
	.set _Z6kernelI10flag_tailsxLj256ELj3ELb0ELj100EEvPKT0_PS1_.uses_flat_scratch, 0
	.set _Z6kernelI10flag_tailsxLj256ELj3ELb0ELj100EEvPKT0_PS1_.has_dyn_sized_stack, 0
	.set _Z6kernelI10flag_tailsxLj256ELj3ELb0ELj100EEvPKT0_PS1_.has_recursion, 0
	.set _Z6kernelI10flag_tailsxLj256ELj3ELb0ELj100EEvPKT0_PS1_.has_indirect_call, 0
	.section	.AMDGPU.csdata,"",@progbits
; Kernel info:
; codeLenInByte = 324
; TotalNumSgprs: 17
; NumVgprs: 11
; ScratchSize: 0
; MemoryBound: 0
; FloatMode: 240
; IeeeMode: 1
; LDSByteSize: 4096 bytes/workgroup (compile time only)
; SGPRBlocks: 2
; VGPRBlocks: 2
; NumSGPRsForWavesPerEU: 17
; NumVGPRsForWavesPerEU: 11
; Occupancy: 10
; WaveLimiterHint : 1
; COMPUTE_PGM_RSRC2:SCRATCH_EN: 0
; COMPUTE_PGM_RSRC2:USER_SGPR: 6
; COMPUTE_PGM_RSRC2:TRAP_HANDLER: 0
; COMPUTE_PGM_RSRC2:TGID_X_EN: 1
; COMPUTE_PGM_RSRC2:TGID_Y_EN: 0
; COMPUTE_PGM_RSRC2:TGID_Z_EN: 0
; COMPUTE_PGM_RSRC2:TIDIG_COMP_CNT: 0
	.section	.text._Z6kernelI10flag_tailsxLj256ELj4ELb0ELj100EEvPKT0_PS1_,"axG",@progbits,_Z6kernelI10flag_tailsxLj256ELj4ELb0ELj100EEvPKT0_PS1_,comdat
	.protected	_Z6kernelI10flag_tailsxLj256ELj4ELb0ELj100EEvPKT0_PS1_ ; -- Begin function _Z6kernelI10flag_tailsxLj256ELj4ELb0ELj100EEvPKT0_PS1_
	.globl	_Z6kernelI10flag_tailsxLj256ELj4ELb0ELj100EEvPKT0_PS1_
	.p2align	8
	.type	_Z6kernelI10flag_tailsxLj256ELj4ELb0ELj100EEvPKT0_PS1_,@function
_Z6kernelI10flag_tailsxLj256ELj4ELb0ELj100EEvPKT0_PS1_: ; @_Z6kernelI10flag_tailsxLj256ELj4ELb0ELj100EEvPKT0_PS1_
; %bb.0:
	s_load_dwordx4 s[0:3], s[4:5], 0x0
	s_lshl_b32 s4, s6, 10
	s_mov_b32 s5, 0
	s_lshl_b64 s[6:7], s[4:5], 3
	v_lshlrev_b32_e32 v11, 3, v0
	s_waitcnt lgkmcnt(0)
	s_add_u32 s0, s0, s6
	s_addc_u32 s1, s1, s7
	v_mov_b32_e32 v1, s1
	v_add_co_u32_e32 v2, vcc, s0, v11
	v_addc_co_u32_e32 v1, vcc, 0, v1, vcc
	v_add_co_u32_e32 v9, vcc, 0x1000, v2
	v_addc_co_u32_e32 v10, vcc, 0, v1, vcc
	global_load_dwordx2 v[5:6], v11, s[0:1]
	global_load_dwordx2 v[7:8], v11, s[0:1] offset:2048
	global_load_dwordx2 v[1:2], v[9:10], off
	global_load_dwordx2 v[3:4], v[9:10], off offset:2048
	s_movk_i32 s0, 0xff
	v_cmp_ne_u32_e32 vcc, s0, v0
	s_movk_i32 s4, 0x64
	s_branch .LBB73_2
.LBB73_1:                               ;   in Loop: Header=BB73_2 Depth=1
	s_or_b64 exec, exec, s[8:9]
	v_cmp_eq_u64_e64 s[0:1], v[5:6], v[7:8]
	s_add_i32 s4, s4, -1
	v_cndmask_b32_e64 v12, 0, 1, s[0:1]
	v_add_co_u32_e64 v5, s[0:1], v5, v12
	v_addc_co_u32_e64 v6, s[0:1], 0, v6, s[0:1]
	v_cmp_eq_u64_e64 s[0:1], v[7:8], v[1:2]
	s_cmp_lg_u32 s4, 0
	v_cndmask_b32_e64 v12, 0, 1, s[0:1]
	v_add_co_u32_e64 v7, s[0:1], v7, v12
	v_addc_co_u32_e64 v8, s[0:1], 0, v8, s[0:1]
	v_cmp_eq_u64_e64 s[0:1], v[1:2], v[3:4]
	v_cndmask_b32_e64 v12, 0, 1, s[0:1]
	v_add_co_u32_e64 v1, s[0:1], v1, v12
	v_addc_co_u32_e64 v2, s[0:1], 0, v2, s[0:1]
	v_add_co_u32_e64 v3, s[0:1], v9, v3
	v_addc_co_u32_e64 v4, s[0:1], v10, v4, s[0:1]
	s_barrier
	s_cbranch_scc0 .LBB73_4
.LBB73_2:                               ; =>This Inner Loop Header: Depth=1
	v_mov_b32_e32 v9, 1
	v_mov_b32_e32 v10, 0
	s_waitcnt vmcnt(3)
	ds_write_b64 v11, v[5:6] offset:2048
	s_waitcnt vmcnt(0) lgkmcnt(0)
	s_barrier
	s_and_saveexec_b64 s[8:9], vcc
	s_cbranch_execz .LBB73_1
; %bb.3:                                ;   in Loop: Header=BB73_2 Depth=1
	ds_read_b64 v[9:10], v11 offset:2056
	s_waitcnt lgkmcnt(0)
	v_cmp_eq_u64_e64 s[0:1], v[3:4], v[9:10]
	v_mov_b32_e32 v10, s5
	v_cndmask_b32_e64 v9, 0, 1, s[0:1]
	s_branch .LBB73_1
.LBB73_4:
	s_add_u32 s0, s2, s6
	s_addc_u32 s1, s3, s7
	v_lshlrev_b32_e32 v0, 3, v0
	v_mov_b32_e32 v9, s1
	v_add_co_u32_e32 v10, vcc, s0, v0
	v_addc_co_u32_e32 v9, vcc, 0, v9, vcc
	global_store_dwordx2 v0, v[5:6], s[0:1]
	global_store_dwordx2 v0, v[7:8], s[0:1] offset:2048
	v_add_co_u32_e32 v5, vcc, 0x1000, v10
	v_addc_co_u32_e32 v6, vcc, 0, v9, vcc
	global_store_dwordx2 v[5:6], v[1:2], off
	global_store_dwordx2 v[5:6], v[3:4], off offset:2048
	s_endpgm
	.section	.rodata,"a",@progbits
	.p2align	6, 0x0
	.amdhsa_kernel _Z6kernelI10flag_tailsxLj256ELj4ELb0ELj100EEvPKT0_PS1_
		.amdhsa_group_segment_fixed_size 4096
		.amdhsa_private_segment_fixed_size 0
		.amdhsa_kernarg_size 16
		.amdhsa_user_sgpr_count 6
		.amdhsa_user_sgpr_private_segment_buffer 1
		.amdhsa_user_sgpr_dispatch_ptr 0
		.amdhsa_user_sgpr_queue_ptr 0
		.amdhsa_user_sgpr_kernarg_segment_ptr 1
		.amdhsa_user_sgpr_dispatch_id 0
		.amdhsa_user_sgpr_flat_scratch_init 0
		.amdhsa_user_sgpr_private_segment_size 0
		.amdhsa_uses_dynamic_stack 0
		.amdhsa_system_sgpr_private_segment_wavefront_offset 0
		.amdhsa_system_sgpr_workgroup_id_x 1
		.amdhsa_system_sgpr_workgroup_id_y 0
		.amdhsa_system_sgpr_workgroup_id_z 0
		.amdhsa_system_sgpr_workgroup_info 0
		.amdhsa_system_vgpr_workitem_id 0
		.amdhsa_next_free_vgpr 13
		.amdhsa_next_free_sgpr 10
		.amdhsa_reserve_vcc 1
		.amdhsa_reserve_flat_scratch 0
		.amdhsa_float_round_mode_32 0
		.amdhsa_float_round_mode_16_64 0
		.amdhsa_float_denorm_mode_32 3
		.amdhsa_float_denorm_mode_16_64 3
		.amdhsa_dx10_clamp 1
		.amdhsa_ieee_mode 1
		.amdhsa_fp16_overflow 0
		.amdhsa_exception_fp_ieee_invalid_op 0
		.amdhsa_exception_fp_denorm_src 0
		.amdhsa_exception_fp_ieee_div_zero 0
		.amdhsa_exception_fp_ieee_overflow 0
		.amdhsa_exception_fp_ieee_underflow 0
		.amdhsa_exception_fp_ieee_inexact 0
		.amdhsa_exception_int_div_zero 0
	.end_amdhsa_kernel
	.section	.text._Z6kernelI10flag_tailsxLj256ELj4ELb0ELj100EEvPKT0_PS1_,"axG",@progbits,_Z6kernelI10flag_tailsxLj256ELj4ELb0ELj100EEvPKT0_PS1_,comdat
.Lfunc_end73:
	.size	_Z6kernelI10flag_tailsxLj256ELj4ELb0ELj100EEvPKT0_PS1_, .Lfunc_end73-_Z6kernelI10flag_tailsxLj256ELj4ELb0ELj100EEvPKT0_PS1_
                                        ; -- End function
	.set _Z6kernelI10flag_tailsxLj256ELj4ELb0ELj100EEvPKT0_PS1_.num_vgpr, 13
	.set _Z6kernelI10flag_tailsxLj256ELj4ELb0ELj100EEvPKT0_PS1_.num_agpr, 0
	.set _Z6kernelI10flag_tailsxLj256ELj4ELb0ELj100EEvPKT0_PS1_.numbered_sgpr, 10
	.set _Z6kernelI10flag_tailsxLj256ELj4ELb0ELj100EEvPKT0_PS1_.num_named_barrier, 0
	.set _Z6kernelI10flag_tailsxLj256ELj4ELb0ELj100EEvPKT0_PS1_.private_seg_size, 0
	.set _Z6kernelI10flag_tailsxLj256ELj4ELb0ELj100EEvPKT0_PS1_.uses_vcc, 1
	.set _Z6kernelI10flag_tailsxLj256ELj4ELb0ELj100EEvPKT0_PS1_.uses_flat_scratch, 0
	.set _Z6kernelI10flag_tailsxLj256ELj4ELb0ELj100EEvPKT0_PS1_.has_dyn_sized_stack, 0
	.set _Z6kernelI10flag_tailsxLj256ELj4ELb0ELj100EEvPKT0_PS1_.has_recursion, 0
	.set _Z6kernelI10flag_tailsxLj256ELj4ELb0ELj100EEvPKT0_PS1_.has_indirect_call, 0
	.section	.AMDGPU.csdata,"",@progbits
; Kernel info:
; codeLenInByte = 384
; TotalNumSgprs: 14
; NumVgprs: 13
; ScratchSize: 0
; MemoryBound: 0
; FloatMode: 240
; IeeeMode: 1
; LDSByteSize: 4096 bytes/workgroup (compile time only)
; SGPRBlocks: 1
; VGPRBlocks: 3
; NumSGPRsForWavesPerEU: 14
; NumVGPRsForWavesPerEU: 13
; Occupancy: 10
; WaveLimiterHint : 1
; COMPUTE_PGM_RSRC2:SCRATCH_EN: 0
; COMPUTE_PGM_RSRC2:USER_SGPR: 6
; COMPUTE_PGM_RSRC2:TRAP_HANDLER: 0
; COMPUTE_PGM_RSRC2:TGID_X_EN: 1
; COMPUTE_PGM_RSRC2:TGID_Y_EN: 0
; COMPUTE_PGM_RSRC2:TGID_Z_EN: 0
; COMPUTE_PGM_RSRC2:TIDIG_COMP_CNT: 0
	.section	.text._Z6kernelI10flag_tailsxLj256ELj8ELb0ELj100EEvPKT0_PS1_,"axG",@progbits,_Z6kernelI10flag_tailsxLj256ELj8ELb0ELj100EEvPKT0_PS1_,comdat
	.protected	_Z6kernelI10flag_tailsxLj256ELj8ELb0ELj100EEvPKT0_PS1_ ; -- Begin function _Z6kernelI10flag_tailsxLj256ELj8ELb0ELj100EEvPKT0_PS1_
	.globl	_Z6kernelI10flag_tailsxLj256ELj8ELb0ELj100EEvPKT0_PS1_
	.p2align	8
	.type	_Z6kernelI10flag_tailsxLj256ELj8ELb0ELj100EEvPKT0_PS1_,@function
_Z6kernelI10flag_tailsxLj256ELj8ELb0ELj100EEvPKT0_PS1_: ; @_Z6kernelI10flag_tailsxLj256ELj8ELb0ELj100EEvPKT0_PS1_
; %bb.0:
	s_load_dwordx4 s[0:3], s[4:5], 0x0
	s_lshl_b32 s4, s6, 11
	s_mov_b32 s5, 0
	s_lshl_b64 s[6:7], s[4:5], 3
	v_lshlrev_b32_e32 v19, 3, v0
	s_waitcnt lgkmcnt(0)
	s_add_u32 s0, s0, s6
	s_addc_u32 s1, s1, s7
	v_mov_b32_e32 v1, s1
	v_add_co_u32_e32 v2, vcc, s0, v19
	v_addc_co_u32_e32 v1, vcc, 0, v1, vcc
	s_movk_i32 s4, 0x1000
	v_add_co_u32_e32 v17, vcc, s4, v2
	v_addc_co_u32_e32 v18, vcc, 0, v1, vcc
	s_movk_i32 s4, 0x2000
	v_add_co_u32_e32 v20, vcc, s4, v2
	v_addc_co_u32_e32 v21, vcc, 0, v1, vcc
	v_add_co_u32_e32 v22, vcc, 0x3000, v2
	v_addc_co_u32_e32 v23, vcc, 0, v1, vcc
	global_load_dwordx2 v[13:14], v19, s[0:1]
	global_load_dwordx2 v[15:16], v19, s[0:1] offset:2048
	global_load_dwordx2 v[9:10], v[17:18], off offset:2048
	global_load_dwordx2 v[1:2], v[22:23], off
	global_load_dwordx2 v[11:12], v[20:21], off offset:-4096
	global_load_dwordx2 v[5:6], v[20:21], off
	global_load_dwordx2 v[7:8], v[20:21], off offset:2048
	global_load_dwordx2 v[3:4], v[22:23], off offset:2048
	s_movk_i32 s0, 0xff
	v_cmp_ne_u32_e32 vcc, s0, v0
	s_movk_i32 s4, 0x64
	s_branch .LBB74_2
.LBB74_1:                               ;   in Loop: Header=BB74_2 Depth=1
	s_or_b64 exec, exec, s[8:9]
	v_cmp_eq_u64_e64 s[0:1], v[13:14], v[15:16]
	s_add_i32 s4, s4, -1
	v_cndmask_b32_e64 v20, 0, 1, s[0:1]
	v_add_co_u32_e64 v13, s[0:1], v13, v20
	v_addc_co_u32_e64 v14, s[0:1], 0, v14, s[0:1]
	v_cmp_eq_u64_e64 s[0:1], v[15:16], v[11:12]
	s_cmp_lg_u32 s4, 0
	v_cndmask_b32_e64 v20, 0, 1, s[0:1]
	v_add_co_u32_e64 v15, s[0:1], v15, v20
	v_addc_co_u32_e64 v16, s[0:1], 0, v16, s[0:1]
	v_cmp_eq_u64_e64 s[0:1], v[11:12], v[9:10]
	v_cndmask_b32_e64 v20, 0, 1, s[0:1]
	v_add_co_u32_e64 v11, s[0:1], v11, v20
	v_addc_co_u32_e64 v12, s[0:1], 0, v12, s[0:1]
	v_cmp_eq_u64_e64 s[0:1], v[9:10], v[5:6]
	s_barrier
	v_cndmask_b32_e64 v20, 0, 1, s[0:1]
	v_add_co_u32_e64 v9, s[0:1], v9, v20
	v_addc_co_u32_e64 v10, s[0:1], 0, v10, s[0:1]
	v_cmp_eq_u64_e64 s[0:1], v[5:6], v[7:8]
	v_cndmask_b32_e64 v20, 0, 1, s[0:1]
	v_add_co_u32_e64 v5, s[0:1], v5, v20
	v_addc_co_u32_e64 v6, s[0:1], 0, v6, s[0:1]
	v_cmp_eq_u64_e64 s[0:1], v[7:8], v[1:2]
	;; [unrolled: 4-line block ×3, first 2 shown]
	v_cndmask_b32_e64 v20, 0, 1, s[0:1]
	v_add_co_u32_e64 v1, s[0:1], v1, v20
	v_addc_co_u32_e64 v2, s[0:1], 0, v2, s[0:1]
	v_add_co_u32_e64 v3, s[0:1], v17, v3
	v_addc_co_u32_e64 v4, s[0:1], v18, v4, s[0:1]
	s_cbranch_scc0 .LBB74_4
.LBB74_2:                               ; =>This Inner Loop Header: Depth=1
	v_mov_b32_e32 v17, 1
	v_mov_b32_e32 v18, 0
	s_waitcnt vmcnt(7)
	ds_write_b64 v19, v[13:14] offset:2048
	s_waitcnt vmcnt(0) lgkmcnt(0)
	s_barrier
	s_and_saveexec_b64 s[8:9], vcc
	s_cbranch_execz .LBB74_1
; %bb.3:                                ;   in Loop: Header=BB74_2 Depth=1
	ds_read_b64 v[17:18], v19 offset:2056
	s_waitcnt lgkmcnt(0)
	v_cmp_eq_u64_e64 s[0:1], v[3:4], v[17:18]
	v_mov_b32_e32 v18, s5
	v_cndmask_b32_e64 v17, 0, 1, s[0:1]
	s_branch .LBB74_1
.LBB74_4:
	s_add_u32 s0, s2, s6
	s_addc_u32 s1, s3, s7
	v_lshlrev_b32_e32 v0, 3, v0
	v_mov_b32_e32 v17, s1
	v_add_co_u32_e32 v18, vcc, s0, v0
	v_addc_co_u32_e32 v17, vcc, 0, v17, vcc
	global_store_dwordx2 v0, v[13:14], s[0:1]
	global_store_dwordx2 v0, v[15:16], s[0:1] offset:2048
	v_add_co_u32_e32 v13, vcc, 0x1000, v18
	v_addc_co_u32_e32 v14, vcc, 0, v17, vcc
	global_store_dwordx2 v[13:14], v[11:12], off
	global_store_dwordx2 v[13:14], v[9:10], off offset:2048
	v_add_co_u32_e32 v9, vcc, 0x2000, v18
	v_addc_co_u32_e32 v10, vcc, 0, v17, vcc
	global_store_dwordx2 v[9:10], v[5:6], off
	global_store_dwordx2 v[9:10], v[7:8], off offset:2048
	;; [unrolled: 4-line block ×3, first 2 shown]
	s_endpgm
	.section	.rodata,"a",@progbits
	.p2align	6, 0x0
	.amdhsa_kernel _Z6kernelI10flag_tailsxLj256ELj8ELb0ELj100EEvPKT0_PS1_
		.amdhsa_group_segment_fixed_size 4096
		.amdhsa_private_segment_fixed_size 0
		.amdhsa_kernarg_size 16
		.amdhsa_user_sgpr_count 6
		.amdhsa_user_sgpr_private_segment_buffer 1
		.amdhsa_user_sgpr_dispatch_ptr 0
		.amdhsa_user_sgpr_queue_ptr 0
		.amdhsa_user_sgpr_kernarg_segment_ptr 1
		.amdhsa_user_sgpr_dispatch_id 0
		.amdhsa_user_sgpr_flat_scratch_init 0
		.amdhsa_user_sgpr_private_segment_size 0
		.amdhsa_uses_dynamic_stack 0
		.amdhsa_system_sgpr_private_segment_wavefront_offset 0
		.amdhsa_system_sgpr_workgroup_id_x 1
		.amdhsa_system_sgpr_workgroup_id_y 0
		.amdhsa_system_sgpr_workgroup_id_z 0
		.amdhsa_system_sgpr_workgroup_info 0
		.amdhsa_system_vgpr_workitem_id 0
		.amdhsa_next_free_vgpr 24
		.amdhsa_next_free_sgpr 10
		.amdhsa_reserve_vcc 1
		.amdhsa_reserve_flat_scratch 0
		.amdhsa_float_round_mode_32 0
		.amdhsa_float_round_mode_16_64 0
		.amdhsa_float_denorm_mode_32 3
		.amdhsa_float_denorm_mode_16_64 3
		.amdhsa_dx10_clamp 1
		.amdhsa_ieee_mode 1
		.amdhsa_fp16_overflow 0
		.amdhsa_exception_fp_ieee_invalid_op 0
		.amdhsa_exception_fp_denorm_src 0
		.amdhsa_exception_fp_ieee_div_zero 0
		.amdhsa_exception_fp_ieee_overflow 0
		.amdhsa_exception_fp_ieee_underflow 0
		.amdhsa_exception_fp_ieee_inexact 0
		.amdhsa_exception_int_div_zero 0
	.end_amdhsa_kernel
	.section	.text._Z6kernelI10flag_tailsxLj256ELj8ELb0ELj100EEvPKT0_PS1_,"axG",@progbits,_Z6kernelI10flag_tailsxLj256ELj8ELb0ELj100EEvPKT0_PS1_,comdat
.Lfunc_end74:
	.size	_Z6kernelI10flag_tailsxLj256ELj8ELb0ELj100EEvPKT0_PS1_, .Lfunc_end74-_Z6kernelI10flag_tailsxLj256ELj8ELb0ELj100EEvPKT0_PS1_
                                        ; -- End function
	.set _Z6kernelI10flag_tailsxLj256ELj8ELb0ELj100EEvPKT0_PS1_.num_vgpr, 24
	.set _Z6kernelI10flag_tailsxLj256ELj8ELb0ELj100EEvPKT0_PS1_.num_agpr, 0
	.set _Z6kernelI10flag_tailsxLj256ELj8ELb0ELj100EEvPKT0_PS1_.numbered_sgpr, 10
	.set _Z6kernelI10flag_tailsxLj256ELj8ELb0ELj100EEvPKT0_PS1_.num_named_barrier, 0
	.set _Z6kernelI10flag_tailsxLj256ELj8ELb0ELj100EEvPKT0_PS1_.private_seg_size, 0
	.set _Z6kernelI10flag_tailsxLj256ELj8ELb0ELj100EEvPKT0_PS1_.uses_vcc, 1
	.set _Z6kernelI10flag_tailsxLj256ELj8ELb0ELj100EEvPKT0_PS1_.uses_flat_scratch, 0
	.set _Z6kernelI10flag_tailsxLj256ELj8ELb0ELj100EEvPKT0_PS1_.has_dyn_sized_stack, 0
	.set _Z6kernelI10flag_tailsxLj256ELj8ELb0ELj100EEvPKT0_PS1_.has_recursion, 0
	.set _Z6kernelI10flag_tailsxLj256ELj8ELb0ELj100EEvPKT0_PS1_.has_indirect_call, 0
	.section	.AMDGPU.csdata,"",@progbits
; Kernel info:
; codeLenInByte = 624
; TotalNumSgprs: 14
; NumVgprs: 24
; ScratchSize: 0
; MemoryBound: 0
; FloatMode: 240
; IeeeMode: 1
; LDSByteSize: 4096 bytes/workgroup (compile time only)
; SGPRBlocks: 1
; VGPRBlocks: 5
; NumSGPRsForWavesPerEU: 14
; NumVGPRsForWavesPerEU: 24
; Occupancy: 10
; WaveLimiterHint : 1
; COMPUTE_PGM_RSRC2:SCRATCH_EN: 0
; COMPUTE_PGM_RSRC2:USER_SGPR: 6
; COMPUTE_PGM_RSRC2:TRAP_HANDLER: 0
; COMPUTE_PGM_RSRC2:TGID_X_EN: 1
; COMPUTE_PGM_RSRC2:TGID_Y_EN: 0
; COMPUTE_PGM_RSRC2:TGID_Z_EN: 0
; COMPUTE_PGM_RSRC2:TIDIG_COMP_CNT: 0
	.section	.text._Z6kernelI10flag_tailsxLj256ELj1ELb1ELj100EEvPKT0_PS1_,"axG",@progbits,_Z6kernelI10flag_tailsxLj256ELj1ELb1ELj100EEvPKT0_PS1_,comdat
	.protected	_Z6kernelI10flag_tailsxLj256ELj1ELb1ELj100EEvPKT0_PS1_ ; -- Begin function _Z6kernelI10flag_tailsxLj256ELj1ELb1ELj100EEvPKT0_PS1_
	.globl	_Z6kernelI10flag_tailsxLj256ELj1ELb1ELj100EEvPKT0_PS1_
	.p2align	8
	.type	_Z6kernelI10flag_tailsxLj256ELj1ELb1ELj100EEvPKT0_PS1_,@function
_Z6kernelI10flag_tailsxLj256ELj1ELb1ELj100EEvPKT0_PS1_: ; @_Z6kernelI10flag_tailsxLj256ELj1ELb1ELj100EEvPKT0_PS1_
; %bb.0:
	s_load_dwordx4 s[0:3], s[4:5], 0x0
	s_lshl_b32 s4, s6, 8
	s_mov_b32 s5, 0
	s_lshl_b64 s[4:5], s[4:5], 3
	v_lshlrev_b32_e32 v5, 3, v0
	s_waitcnt lgkmcnt(0)
	s_add_u32 s0, s0, s4
	s_addc_u32 s1, s1, s5
	global_load_dwordx2 v[1:2], v5, s[0:1]
	s_movk_i32 s0, 0xff
	v_cmp_ne_u32_e32 vcc, s0, v0
	s_movk_i32 s6, 0x64
	s_branch .LBB75_2
.LBB75_1:                               ;   in Loop: Header=BB75_2 Depth=1
	s_or_b64 exec, exec, s[0:1]
	s_waitcnt lgkmcnt(0)
	v_cmp_eq_u64_e64 s[0:1], v[1:2], v[3:4]
	s_add_i32 s6, s6, -1
	v_cndmask_b32_e64 v3, 0, 1, s[0:1]
	v_add_co_u32_e64 v1, s[0:1], v1, v3
	v_addc_co_u32_e64 v2, s[0:1], 0, v2, s[0:1]
	s_cmp_lg_u32 s6, 0
	s_barrier
	s_cbranch_scc0 .LBB75_4
.LBB75_2:                               ; =>This Inner Loop Header: Depth=1
	v_mov_b32_e32 v3, 0x7b
	v_mov_b32_e32 v4, 0
	s_waitcnt vmcnt(0)
	ds_write_b64 v5, v[1:2] offset:2048
	s_waitcnt lgkmcnt(0)
	s_barrier
	s_and_saveexec_b64 s[0:1], vcc
	s_cbranch_execz .LBB75_1
; %bb.3:                                ;   in Loop: Header=BB75_2 Depth=1
	ds_read_b64 v[3:4], v5 offset:2056
	s_branch .LBB75_1
.LBB75_4:
	s_add_u32 s0, s2, s4
	s_addc_u32 s1, s3, s5
	v_lshlrev_b32_e32 v0, 3, v0
	global_store_dwordx2 v0, v[1:2], s[0:1]
	s_endpgm
	.section	.rodata,"a",@progbits
	.p2align	6, 0x0
	.amdhsa_kernel _Z6kernelI10flag_tailsxLj256ELj1ELb1ELj100EEvPKT0_PS1_
		.amdhsa_group_segment_fixed_size 4096
		.amdhsa_private_segment_fixed_size 0
		.amdhsa_kernarg_size 16
		.amdhsa_user_sgpr_count 6
		.amdhsa_user_sgpr_private_segment_buffer 1
		.amdhsa_user_sgpr_dispatch_ptr 0
		.amdhsa_user_sgpr_queue_ptr 0
		.amdhsa_user_sgpr_kernarg_segment_ptr 1
		.amdhsa_user_sgpr_dispatch_id 0
		.amdhsa_user_sgpr_flat_scratch_init 0
		.amdhsa_user_sgpr_private_segment_size 0
		.amdhsa_uses_dynamic_stack 0
		.amdhsa_system_sgpr_private_segment_wavefront_offset 0
		.amdhsa_system_sgpr_workgroup_id_x 1
		.amdhsa_system_sgpr_workgroup_id_y 0
		.amdhsa_system_sgpr_workgroup_id_z 0
		.amdhsa_system_sgpr_workgroup_info 0
		.amdhsa_system_vgpr_workitem_id 0
		.amdhsa_next_free_vgpr 6
		.amdhsa_next_free_sgpr 7
		.amdhsa_reserve_vcc 1
		.amdhsa_reserve_flat_scratch 0
		.amdhsa_float_round_mode_32 0
		.amdhsa_float_round_mode_16_64 0
		.amdhsa_float_denorm_mode_32 3
		.amdhsa_float_denorm_mode_16_64 3
		.amdhsa_dx10_clamp 1
		.amdhsa_ieee_mode 1
		.amdhsa_fp16_overflow 0
		.amdhsa_exception_fp_ieee_invalid_op 0
		.amdhsa_exception_fp_denorm_src 0
		.amdhsa_exception_fp_ieee_div_zero 0
		.amdhsa_exception_fp_ieee_overflow 0
		.amdhsa_exception_fp_ieee_underflow 0
		.amdhsa_exception_fp_ieee_inexact 0
		.amdhsa_exception_int_div_zero 0
	.end_amdhsa_kernel
	.section	.text._Z6kernelI10flag_tailsxLj256ELj1ELb1ELj100EEvPKT0_PS1_,"axG",@progbits,_Z6kernelI10flag_tailsxLj256ELj1ELb1ELj100EEvPKT0_PS1_,comdat
.Lfunc_end75:
	.size	_Z6kernelI10flag_tailsxLj256ELj1ELb1ELj100EEvPKT0_PS1_, .Lfunc_end75-_Z6kernelI10flag_tailsxLj256ELj1ELb1ELj100EEvPKT0_PS1_
                                        ; -- End function
	.set _Z6kernelI10flag_tailsxLj256ELj1ELb1ELj100EEvPKT0_PS1_.num_vgpr, 6
	.set _Z6kernelI10flag_tailsxLj256ELj1ELb1ELj100EEvPKT0_PS1_.num_agpr, 0
	.set _Z6kernelI10flag_tailsxLj256ELj1ELb1ELj100EEvPKT0_PS1_.numbered_sgpr, 7
	.set _Z6kernelI10flag_tailsxLj256ELj1ELb1ELj100EEvPKT0_PS1_.num_named_barrier, 0
	.set _Z6kernelI10flag_tailsxLj256ELj1ELb1ELj100EEvPKT0_PS1_.private_seg_size, 0
	.set _Z6kernelI10flag_tailsxLj256ELj1ELb1ELj100EEvPKT0_PS1_.uses_vcc, 1
	.set _Z6kernelI10flag_tailsxLj256ELj1ELb1ELj100EEvPKT0_PS1_.uses_flat_scratch, 0
	.set _Z6kernelI10flag_tailsxLj256ELj1ELb1ELj100EEvPKT0_PS1_.has_dyn_sized_stack, 0
	.set _Z6kernelI10flag_tailsxLj256ELj1ELb1ELj100EEvPKT0_PS1_.has_recursion, 0
	.set _Z6kernelI10flag_tailsxLj256ELj1ELb1ELj100EEvPKT0_PS1_.has_indirect_call, 0
	.section	.AMDGPU.csdata,"",@progbits
; Kernel info:
; codeLenInByte = 192
; TotalNumSgprs: 11
; NumVgprs: 6
; ScratchSize: 0
; MemoryBound: 0
; FloatMode: 240
; IeeeMode: 1
; LDSByteSize: 4096 bytes/workgroup (compile time only)
; SGPRBlocks: 1
; VGPRBlocks: 1
; NumSGPRsForWavesPerEU: 11
; NumVGPRsForWavesPerEU: 6
; Occupancy: 10
; WaveLimiterHint : 0
; COMPUTE_PGM_RSRC2:SCRATCH_EN: 0
; COMPUTE_PGM_RSRC2:USER_SGPR: 6
; COMPUTE_PGM_RSRC2:TRAP_HANDLER: 0
; COMPUTE_PGM_RSRC2:TGID_X_EN: 1
; COMPUTE_PGM_RSRC2:TGID_Y_EN: 0
; COMPUTE_PGM_RSRC2:TGID_Z_EN: 0
; COMPUTE_PGM_RSRC2:TIDIG_COMP_CNT: 0
	.section	.text._Z6kernelI10flag_tailsxLj256ELj2ELb1ELj100EEvPKT0_PS1_,"axG",@progbits,_Z6kernelI10flag_tailsxLj256ELj2ELb1ELj100EEvPKT0_PS1_,comdat
	.protected	_Z6kernelI10flag_tailsxLj256ELj2ELb1ELj100EEvPKT0_PS1_ ; -- Begin function _Z6kernelI10flag_tailsxLj256ELj2ELb1ELj100EEvPKT0_PS1_
	.globl	_Z6kernelI10flag_tailsxLj256ELj2ELb1ELj100EEvPKT0_PS1_
	.p2align	8
	.type	_Z6kernelI10flag_tailsxLj256ELj2ELb1ELj100EEvPKT0_PS1_,@function
_Z6kernelI10flag_tailsxLj256ELj2ELb1ELj100EEvPKT0_PS1_: ; @_Z6kernelI10flag_tailsxLj256ELj2ELb1ELj100EEvPKT0_PS1_
; %bb.0:
	s_load_dwordx4 s[0:3], s[4:5], 0x0
	s_lshl_b32 s4, s6, 9
	s_mov_b32 s5, 0
	s_lshl_b64 s[4:5], s[4:5], 3
	v_lshlrev_b32_e32 v7, 3, v0
	s_waitcnt lgkmcnt(0)
	s_add_u32 s0, s0, s4
	s_addc_u32 s1, s1, s5
	global_load_dwordx2 v[1:2], v7, s[0:1]
	global_load_dwordx2 v[3:4], v7, s[0:1] offset:2048
	s_movk_i32 s0, 0xff
	v_cmp_ne_u32_e32 vcc, s0, v0
	s_movk_i32 s6, 0x64
	s_branch .LBB76_2
.LBB76_1:                               ;   in Loop: Header=BB76_2 Depth=1
	s_or_b64 exec, exec, s[0:1]
	v_cmp_eq_u64_e64 s[0:1], v[1:2], v[3:4]
	s_add_i32 s6, s6, -1
	v_cndmask_b32_e64 v8, 0, 1, s[0:1]
	v_add_co_u32_e64 v1, s[0:1], v1, v8
	v_addc_co_u32_e64 v2, s[0:1], 0, v2, s[0:1]
	s_waitcnt lgkmcnt(0)
	v_cmp_eq_u64_e64 s[0:1], v[3:4], v[5:6]
	s_cmp_lg_u32 s6, 0
	v_cndmask_b32_e64 v5, 0, 1, s[0:1]
	v_add_co_u32_e64 v3, s[0:1], v3, v5
	v_addc_co_u32_e64 v4, s[0:1], 0, v4, s[0:1]
	s_barrier
	s_cbranch_scc0 .LBB76_4
.LBB76_2:                               ; =>This Inner Loop Header: Depth=1
	v_mov_b32_e32 v5, 0x7b
	v_mov_b32_e32 v6, 0
	s_waitcnt vmcnt(1)
	ds_write_b64 v7, v[1:2] offset:2048
	s_waitcnt vmcnt(0) lgkmcnt(0)
	s_barrier
	s_and_saveexec_b64 s[0:1], vcc
	s_cbranch_execz .LBB76_1
; %bb.3:                                ;   in Loop: Header=BB76_2 Depth=1
	ds_read_b64 v[5:6], v7 offset:2056
	s_branch .LBB76_1
.LBB76_4:
	s_add_u32 s0, s2, s4
	s_addc_u32 s1, s3, s5
	v_lshlrev_b32_e32 v0, 3, v0
	global_store_dwordx2 v0, v[1:2], s[0:1]
	global_store_dwordx2 v0, v[3:4], s[0:1] offset:2048
	s_endpgm
	.section	.rodata,"a",@progbits
	.p2align	6, 0x0
	.amdhsa_kernel _Z6kernelI10flag_tailsxLj256ELj2ELb1ELj100EEvPKT0_PS1_
		.amdhsa_group_segment_fixed_size 4096
		.amdhsa_private_segment_fixed_size 0
		.amdhsa_kernarg_size 16
		.amdhsa_user_sgpr_count 6
		.amdhsa_user_sgpr_private_segment_buffer 1
		.amdhsa_user_sgpr_dispatch_ptr 0
		.amdhsa_user_sgpr_queue_ptr 0
		.amdhsa_user_sgpr_kernarg_segment_ptr 1
		.amdhsa_user_sgpr_dispatch_id 0
		.amdhsa_user_sgpr_flat_scratch_init 0
		.amdhsa_user_sgpr_private_segment_size 0
		.amdhsa_uses_dynamic_stack 0
		.amdhsa_system_sgpr_private_segment_wavefront_offset 0
		.amdhsa_system_sgpr_workgroup_id_x 1
		.amdhsa_system_sgpr_workgroup_id_y 0
		.amdhsa_system_sgpr_workgroup_id_z 0
		.amdhsa_system_sgpr_workgroup_info 0
		.amdhsa_system_vgpr_workitem_id 0
		.amdhsa_next_free_vgpr 9
		.amdhsa_next_free_sgpr 7
		.amdhsa_reserve_vcc 1
		.amdhsa_reserve_flat_scratch 0
		.amdhsa_float_round_mode_32 0
		.amdhsa_float_round_mode_16_64 0
		.amdhsa_float_denorm_mode_32 3
		.amdhsa_float_denorm_mode_16_64 3
		.amdhsa_dx10_clamp 1
		.amdhsa_ieee_mode 1
		.amdhsa_fp16_overflow 0
		.amdhsa_exception_fp_ieee_invalid_op 0
		.amdhsa_exception_fp_denorm_src 0
		.amdhsa_exception_fp_ieee_div_zero 0
		.amdhsa_exception_fp_ieee_overflow 0
		.amdhsa_exception_fp_ieee_underflow 0
		.amdhsa_exception_fp_ieee_inexact 0
		.amdhsa_exception_int_div_zero 0
	.end_amdhsa_kernel
	.section	.text._Z6kernelI10flag_tailsxLj256ELj2ELb1ELj100EEvPKT0_PS1_,"axG",@progbits,_Z6kernelI10flag_tailsxLj256ELj2ELb1ELj100EEvPKT0_PS1_,comdat
.Lfunc_end76:
	.size	_Z6kernelI10flag_tailsxLj256ELj2ELb1ELj100EEvPKT0_PS1_, .Lfunc_end76-_Z6kernelI10flag_tailsxLj256ELj2ELb1ELj100EEvPKT0_PS1_
                                        ; -- End function
	.set _Z6kernelI10flag_tailsxLj256ELj2ELb1ELj100EEvPKT0_PS1_.num_vgpr, 9
	.set _Z6kernelI10flag_tailsxLj256ELj2ELb1ELj100EEvPKT0_PS1_.num_agpr, 0
	.set _Z6kernelI10flag_tailsxLj256ELj2ELb1ELj100EEvPKT0_PS1_.numbered_sgpr, 7
	.set _Z6kernelI10flag_tailsxLj256ELj2ELb1ELj100EEvPKT0_PS1_.num_named_barrier, 0
	.set _Z6kernelI10flag_tailsxLj256ELj2ELb1ELj100EEvPKT0_PS1_.private_seg_size, 0
	.set _Z6kernelI10flag_tailsxLj256ELj2ELb1ELj100EEvPKT0_PS1_.uses_vcc, 1
	.set _Z6kernelI10flag_tailsxLj256ELj2ELb1ELj100EEvPKT0_PS1_.uses_flat_scratch, 0
	.set _Z6kernelI10flag_tailsxLj256ELj2ELb1ELj100EEvPKT0_PS1_.has_dyn_sized_stack, 0
	.set _Z6kernelI10flag_tailsxLj256ELj2ELb1ELj100EEvPKT0_PS1_.has_recursion, 0
	.set _Z6kernelI10flag_tailsxLj256ELj2ELb1ELj100EEvPKT0_PS1_.has_indirect_call, 0
	.section	.AMDGPU.csdata,"",@progbits
; Kernel info:
; codeLenInByte = 240
; TotalNumSgprs: 11
; NumVgprs: 9
; ScratchSize: 0
; MemoryBound: 0
; FloatMode: 240
; IeeeMode: 1
; LDSByteSize: 4096 bytes/workgroup (compile time only)
; SGPRBlocks: 1
; VGPRBlocks: 2
; NumSGPRsForWavesPerEU: 11
; NumVGPRsForWavesPerEU: 9
; Occupancy: 10
; WaveLimiterHint : 1
; COMPUTE_PGM_RSRC2:SCRATCH_EN: 0
; COMPUTE_PGM_RSRC2:USER_SGPR: 6
; COMPUTE_PGM_RSRC2:TRAP_HANDLER: 0
; COMPUTE_PGM_RSRC2:TGID_X_EN: 1
; COMPUTE_PGM_RSRC2:TGID_Y_EN: 0
; COMPUTE_PGM_RSRC2:TGID_Z_EN: 0
; COMPUTE_PGM_RSRC2:TIDIG_COMP_CNT: 0
	.section	.text._Z6kernelI10flag_tailsxLj256ELj3ELb1ELj100EEvPKT0_PS1_,"axG",@progbits,_Z6kernelI10flag_tailsxLj256ELj3ELb1ELj100EEvPKT0_PS1_,comdat
	.protected	_Z6kernelI10flag_tailsxLj256ELj3ELb1ELj100EEvPKT0_PS1_ ; -- Begin function _Z6kernelI10flag_tailsxLj256ELj3ELb1ELj100EEvPKT0_PS1_
	.globl	_Z6kernelI10flag_tailsxLj256ELj3ELb1ELj100EEvPKT0_PS1_
	.p2align	8
	.type	_Z6kernelI10flag_tailsxLj256ELj3ELb1ELj100EEvPKT0_PS1_,@function
_Z6kernelI10flag_tailsxLj256ELj3ELb1ELj100EEvPKT0_PS1_: ; @_Z6kernelI10flag_tailsxLj256ELj3ELb1ELj100EEvPKT0_PS1_
; %bb.0:
	s_load_dwordx4 s[0:3], s[4:5], 0x0
	s_mul_i32 s4, s6, 0x300
	s_mov_b32 s5, 0
	s_lshl_b64 s[4:5], s[4:5], 3
	v_lshlrev_b32_e32 v9, 3, v0
	s_waitcnt lgkmcnt(0)
	s_add_u32 s0, s0, s4
	s_addc_u32 s1, s1, s5
	v_mov_b32_e32 v1, s1
	v_add_co_u32_e32 v2, vcc, s0, v9
	v_addc_co_u32_e32 v1, vcc, 0, v1, vcc
	v_add_co_u32_e32 v7, vcc, 0x1000, v2
	v_addc_co_u32_e32 v8, vcc, 0, v1, vcc
	global_load_dwordx2 v[3:4], v9, s[0:1]
	global_load_dwordx2 v[5:6], v9, s[0:1] offset:2048
	global_load_dwordx2 v[1:2], v[7:8], off
	s_movk_i32 s0, 0xff
	v_cmp_ne_u32_e32 vcc, s0, v0
	s_movk_i32 s6, 0x64
	s_branch .LBB77_2
.LBB77_1:                               ;   in Loop: Header=BB77_2 Depth=1
	s_or_b64 exec, exec, s[0:1]
	v_cmp_eq_u64_e64 s[0:1], v[3:4], v[5:6]
	s_add_i32 s6, s6, -1
	v_cndmask_b32_e64 v10, 0, 1, s[0:1]
	v_add_co_u32_e64 v3, s[0:1], v3, v10
	v_addc_co_u32_e64 v4, s[0:1], 0, v4, s[0:1]
	v_cmp_eq_u64_e64 s[0:1], v[5:6], v[1:2]
	s_cmp_lg_u32 s6, 0
	v_cndmask_b32_e64 v10, 0, 1, s[0:1]
	v_add_co_u32_e64 v5, s[0:1], v5, v10
	v_addc_co_u32_e64 v6, s[0:1], 0, v6, s[0:1]
	s_waitcnt lgkmcnt(0)
	v_cmp_eq_u64_e64 s[0:1], v[1:2], v[7:8]
	v_cndmask_b32_e64 v7, 0, 1, s[0:1]
	v_add_co_u32_e64 v1, s[0:1], v1, v7
	v_addc_co_u32_e64 v2, s[0:1], 0, v2, s[0:1]
	s_barrier
	s_cbranch_scc0 .LBB77_4
.LBB77_2:                               ; =>This Inner Loop Header: Depth=1
	v_mov_b32_e32 v7, 0x7b
	v_mov_b32_e32 v8, 0
	s_waitcnt vmcnt(2)
	ds_write_b64 v9, v[3:4] offset:2048
	s_waitcnt vmcnt(0) lgkmcnt(0)
	s_barrier
	s_and_saveexec_b64 s[0:1], vcc
	s_cbranch_execz .LBB77_1
; %bb.3:                                ;   in Loop: Header=BB77_2 Depth=1
	ds_read_b64 v[7:8], v9 offset:2056
	s_branch .LBB77_1
.LBB77_4:
	s_add_u32 s0, s2, s4
	s_addc_u32 s1, s3, s5
	v_lshlrev_b32_e32 v0, 3, v0
	v_mov_b32_e32 v7, s1
	v_add_co_u32_e32 v8, vcc, s0, v0
	v_addc_co_u32_e32 v7, vcc, 0, v7, vcc
	global_store_dwordx2 v0, v[3:4], s[0:1]
	global_store_dwordx2 v0, v[5:6], s[0:1] offset:2048
	v_add_co_u32_e32 v3, vcc, 0x1000, v8
	v_addc_co_u32_e32 v4, vcc, 0, v7, vcc
	global_store_dwordx2 v[3:4], v[1:2], off
	s_endpgm
	.section	.rodata,"a",@progbits
	.p2align	6, 0x0
	.amdhsa_kernel _Z6kernelI10flag_tailsxLj256ELj3ELb1ELj100EEvPKT0_PS1_
		.amdhsa_group_segment_fixed_size 4096
		.amdhsa_private_segment_fixed_size 0
		.amdhsa_kernarg_size 16
		.amdhsa_user_sgpr_count 6
		.amdhsa_user_sgpr_private_segment_buffer 1
		.amdhsa_user_sgpr_dispatch_ptr 0
		.amdhsa_user_sgpr_queue_ptr 0
		.amdhsa_user_sgpr_kernarg_segment_ptr 1
		.amdhsa_user_sgpr_dispatch_id 0
		.amdhsa_user_sgpr_flat_scratch_init 0
		.amdhsa_user_sgpr_private_segment_size 0
		.amdhsa_uses_dynamic_stack 0
		.amdhsa_system_sgpr_private_segment_wavefront_offset 0
		.amdhsa_system_sgpr_workgroup_id_x 1
		.amdhsa_system_sgpr_workgroup_id_y 0
		.amdhsa_system_sgpr_workgroup_id_z 0
		.amdhsa_system_sgpr_workgroup_info 0
		.amdhsa_system_vgpr_workitem_id 0
		.amdhsa_next_free_vgpr 11
		.amdhsa_next_free_sgpr 7
		.amdhsa_reserve_vcc 1
		.amdhsa_reserve_flat_scratch 0
		.amdhsa_float_round_mode_32 0
		.amdhsa_float_round_mode_16_64 0
		.amdhsa_float_denorm_mode_32 3
		.amdhsa_float_denorm_mode_16_64 3
		.amdhsa_dx10_clamp 1
		.amdhsa_ieee_mode 1
		.amdhsa_fp16_overflow 0
		.amdhsa_exception_fp_ieee_invalid_op 0
		.amdhsa_exception_fp_denorm_src 0
		.amdhsa_exception_fp_ieee_div_zero 0
		.amdhsa_exception_fp_ieee_overflow 0
		.amdhsa_exception_fp_ieee_underflow 0
		.amdhsa_exception_fp_ieee_inexact 0
		.amdhsa_exception_int_div_zero 0
	.end_amdhsa_kernel
	.section	.text._Z6kernelI10flag_tailsxLj256ELj3ELb1ELj100EEvPKT0_PS1_,"axG",@progbits,_Z6kernelI10flag_tailsxLj256ELj3ELb1ELj100EEvPKT0_PS1_,comdat
.Lfunc_end77:
	.size	_Z6kernelI10flag_tailsxLj256ELj3ELb1ELj100EEvPKT0_PS1_, .Lfunc_end77-_Z6kernelI10flag_tailsxLj256ELj3ELb1ELj100EEvPKT0_PS1_
                                        ; -- End function
	.set _Z6kernelI10flag_tailsxLj256ELj3ELb1ELj100EEvPKT0_PS1_.num_vgpr, 11
	.set _Z6kernelI10flag_tailsxLj256ELj3ELb1ELj100EEvPKT0_PS1_.num_agpr, 0
	.set _Z6kernelI10flag_tailsxLj256ELj3ELb1ELj100EEvPKT0_PS1_.numbered_sgpr, 7
	.set _Z6kernelI10flag_tailsxLj256ELj3ELb1ELj100EEvPKT0_PS1_.num_named_barrier, 0
	.set _Z6kernelI10flag_tailsxLj256ELj3ELb1ELj100EEvPKT0_PS1_.private_seg_size, 0
	.set _Z6kernelI10flag_tailsxLj256ELj3ELb1ELj100EEvPKT0_PS1_.uses_vcc, 1
	.set _Z6kernelI10flag_tailsxLj256ELj3ELb1ELj100EEvPKT0_PS1_.uses_flat_scratch, 0
	.set _Z6kernelI10flag_tailsxLj256ELj3ELb1ELj100EEvPKT0_PS1_.has_dyn_sized_stack, 0
	.set _Z6kernelI10flag_tailsxLj256ELj3ELb1ELj100EEvPKT0_PS1_.has_recursion, 0
	.set _Z6kernelI10flag_tailsxLj256ELj3ELb1ELj100EEvPKT0_PS1_.has_indirect_call, 0
	.section	.AMDGPU.csdata,"",@progbits
; Kernel info:
; codeLenInByte = 340
; TotalNumSgprs: 11
; NumVgprs: 11
; ScratchSize: 0
; MemoryBound: 0
; FloatMode: 240
; IeeeMode: 1
; LDSByteSize: 4096 bytes/workgroup (compile time only)
; SGPRBlocks: 1
; VGPRBlocks: 2
; NumSGPRsForWavesPerEU: 11
; NumVGPRsForWavesPerEU: 11
; Occupancy: 10
; WaveLimiterHint : 1
; COMPUTE_PGM_RSRC2:SCRATCH_EN: 0
; COMPUTE_PGM_RSRC2:USER_SGPR: 6
; COMPUTE_PGM_RSRC2:TRAP_HANDLER: 0
; COMPUTE_PGM_RSRC2:TGID_X_EN: 1
; COMPUTE_PGM_RSRC2:TGID_Y_EN: 0
; COMPUTE_PGM_RSRC2:TGID_Z_EN: 0
; COMPUTE_PGM_RSRC2:TIDIG_COMP_CNT: 0
	.section	.text._Z6kernelI10flag_tailsxLj256ELj4ELb1ELj100EEvPKT0_PS1_,"axG",@progbits,_Z6kernelI10flag_tailsxLj256ELj4ELb1ELj100EEvPKT0_PS1_,comdat
	.protected	_Z6kernelI10flag_tailsxLj256ELj4ELb1ELj100EEvPKT0_PS1_ ; -- Begin function _Z6kernelI10flag_tailsxLj256ELj4ELb1ELj100EEvPKT0_PS1_
	.globl	_Z6kernelI10flag_tailsxLj256ELj4ELb1ELj100EEvPKT0_PS1_
	.p2align	8
	.type	_Z6kernelI10flag_tailsxLj256ELj4ELb1ELj100EEvPKT0_PS1_,@function
_Z6kernelI10flag_tailsxLj256ELj4ELb1ELj100EEvPKT0_PS1_: ; @_Z6kernelI10flag_tailsxLj256ELj4ELb1ELj100EEvPKT0_PS1_
; %bb.0:
	s_load_dwordx4 s[0:3], s[4:5], 0x0
	s_lshl_b32 s4, s6, 10
	s_mov_b32 s5, 0
	s_lshl_b64 s[4:5], s[4:5], 3
	v_lshlrev_b32_e32 v11, 3, v0
	s_waitcnt lgkmcnt(0)
	s_add_u32 s0, s0, s4
	s_addc_u32 s1, s1, s5
	v_mov_b32_e32 v1, s1
	v_add_co_u32_e32 v2, vcc, s0, v11
	v_addc_co_u32_e32 v1, vcc, 0, v1, vcc
	v_add_co_u32_e32 v9, vcc, 0x1000, v2
	v_addc_co_u32_e32 v10, vcc, 0, v1, vcc
	global_load_dwordx2 v[5:6], v11, s[0:1]
	global_load_dwordx2 v[7:8], v11, s[0:1] offset:2048
	global_load_dwordx2 v[1:2], v[9:10], off
	global_load_dwordx2 v[3:4], v[9:10], off offset:2048
	s_movk_i32 s0, 0xff
	v_cmp_ne_u32_e32 vcc, s0, v0
	s_movk_i32 s6, 0x64
	s_branch .LBB78_2
.LBB78_1:                               ;   in Loop: Header=BB78_2 Depth=1
	s_or_b64 exec, exec, s[0:1]
	v_cmp_eq_u64_e64 s[0:1], v[5:6], v[7:8]
	s_add_i32 s6, s6, -1
	v_cndmask_b32_e64 v12, 0, 1, s[0:1]
	v_add_co_u32_e64 v5, s[0:1], v5, v12
	v_addc_co_u32_e64 v6, s[0:1], 0, v6, s[0:1]
	v_cmp_eq_u64_e64 s[0:1], v[7:8], v[1:2]
	s_cmp_lg_u32 s6, 0
	v_cndmask_b32_e64 v12, 0, 1, s[0:1]
	v_add_co_u32_e64 v7, s[0:1], v7, v12
	v_addc_co_u32_e64 v8, s[0:1], 0, v8, s[0:1]
	v_cmp_eq_u64_e64 s[0:1], v[1:2], v[3:4]
	s_waitcnt lgkmcnt(0)
	v_cndmask_b32_e64 v12, 0, 1, s[0:1]
	v_add_co_u32_e64 v1, s[0:1], v1, v12
	v_addc_co_u32_e64 v2, s[0:1], 0, v2, s[0:1]
	v_cmp_eq_u64_e64 s[0:1], v[3:4], v[9:10]
	s_barrier
	v_cndmask_b32_e64 v9, 0, 1, s[0:1]
	v_add_co_u32_e64 v3, s[0:1], v3, v9
	v_addc_co_u32_e64 v4, s[0:1], 0, v4, s[0:1]
	s_cbranch_scc0 .LBB78_4
.LBB78_2:                               ; =>This Inner Loop Header: Depth=1
	v_mov_b32_e32 v9, 0x7b
	v_mov_b32_e32 v10, 0
	s_waitcnt vmcnt(3)
	ds_write_b64 v11, v[5:6] offset:2048
	s_waitcnt vmcnt(0) lgkmcnt(0)
	s_barrier
	s_and_saveexec_b64 s[0:1], vcc
	s_cbranch_execz .LBB78_1
; %bb.3:                                ;   in Loop: Header=BB78_2 Depth=1
	ds_read_b64 v[9:10], v11 offset:2056
	s_branch .LBB78_1
.LBB78_4:
	s_add_u32 s0, s2, s4
	s_addc_u32 s1, s3, s5
	v_lshlrev_b32_e32 v0, 3, v0
	v_mov_b32_e32 v9, s1
	v_add_co_u32_e32 v10, vcc, s0, v0
	v_addc_co_u32_e32 v9, vcc, 0, v9, vcc
	global_store_dwordx2 v0, v[5:6], s[0:1]
	global_store_dwordx2 v0, v[7:8], s[0:1] offset:2048
	v_add_co_u32_e32 v5, vcc, 0x1000, v10
	v_addc_co_u32_e32 v6, vcc, 0, v9, vcc
	global_store_dwordx2 v[5:6], v[1:2], off
	global_store_dwordx2 v[5:6], v[3:4], off offset:2048
	s_endpgm
	.section	.rodata,"a",@progbits
	.p2align	6, 0x0
	.amdhsa_kernel _Z6kernelI10flag_tailsxLj256ELj4ELb1ELj100EEvPKT0_PS1_
		.amdhsa_group_segment_fixed_size 4096
		.amdhsa_private_segment_fixed_size 0
		.amdhsa_kernarg_size 16
		.amdhsa_user_sgpr_count 6
		.amdhsa_user_sgpr_private_segment_buffer 1
		.amdhsa_user_sgpr_dispatch_ptr 0
		.amdhsa_user_sgpr_queue_ptr 0
		.amdhsa_user_sgpr_kernarg_segment_ptr 1
		.amdhsa_user_sgpr_dispatch_id 0
		.amdhsa_user_sgpr_flat_scratch_init 0
		.amdhsa_user_sgpr_private_segment_size 0
		.amdhsa_uses_dynamic_stack 0
		.amdhsa_system_sgpr_private_segment_wavefront_offset 0
		.amdhsa_system_sgpr_workgroup_id_x 1
		.amdhsa_system_sgpr_workgroup_id_y 0
		.amdhsa_system_sgpr_workgroup_id_z 0
		.amdhsa_system_sgpr_workgroup_info 0
		.amdhsa_system_vgpr_workitem_id 0
		.amdhsa_next_free_vgpr 13
		.amdhsa_next_free_sgpr 7
		.amdhsa_reserve_vcc 1
		.amdhsa_reserve_flat_scratch 0
		.amdhsa_float_round_mode_32 0
		.amdhsa_float_round_mode_16_64 0
		.amdhsa_float_denorm_mode_32 3
		.amdhsa_float_denorm_mode_16_64 3
		.amdhsa_dx10_clamp 1
		.amdhsa_ieee_mode 1
		.amdhsa_fp16_overflow 0
		.amdhsa_exception_fp_ieee_invalid_op 0
		.amdhsa_exception_fp_denorm_src 0
		.amdhsa_exception_fp_ieee_div_zero 0
		.amdhsa_exception_fp_ieee_overflow 0
		.amdhsa_exception_fp_ieee_underflow 0
		.amdhsa_exception_fp_ieee_inexact 0
		.amdhsa_exception_int_div_zero 0
	.end_amdhsa_kernel
	.section	.text._Z6kernelI10flag_tailsxLj256ELj4ELb1ELj100EEvPKT0_PS1_,"axG",@progbits,_Z6kernelI10flag_tailsxLj256ELj4ELb1ELj100EEvPKT0_PS1_,comdat
.Lfunc_end78:
	.size	_Z6kernelI10flag_tailsxLj256ELj4ELb1ELj100EEvPKT0_PS1_, .Lfunc_end78-_Z6kernelI10flag_tailsxLj256ELj4ELb1ELj100EEvPKT0_PS1_
                                        ; -- End function
	.set _Z6kernelI10flag_tailsxLj256ELj4ELb1ELj100EEvPKT0_PS1_.num_vgpr, 13
	.set _Z6kernelI10flag_tailsxLj256ELj4ELb1ELj100EEvPKT0_PS1_.num_agpr, 0
	.set _Z6kernelI10flag_tailsxLj256ELj4ELb1ELj100EEvPKT0_PS1_.numbered_sgpr, 7
	.set _Z6kernelI10flag_tailsxLj256ELj4ELb1ELj100EEvPKT0_PS1_.num_named_barrier, 0
	.set _Z6kernelI10flag_tailsxLj256ELj4ELb1ELj100EEvPKT0_PS1_.private_seg_size, 0
	.set _Z6kernelI10flag_tailsxLj256ELj4ELb1ELj100EEvPKT0_PS1_.uses_vcc, 1
	.set _Z6kernelI10flag_tailsxLj256ELj4ELb1ELj100EEvPKT0_PS1_.uses_flat_scratch, 0
	.set _Z6kernelI10flag_tailsxLj256ELj4ELb1ELj100EEvPKT0_PS1_.has_dyn_sized_stack, 0
	.set _Z6kernelI10flag_tailsxLj256ELj4ELb1ELj100EEvPKT0_PS1_.has_recursion, 0
	.set _Z6kernelI10flag_tailsxLj256ELj4ELb1ELj100EEvPKT0_PS1_.has_indirect_call, 0
	.section	.AMDGPU.csdata,"",@progbits
; Kernel info:
; codeLenInByte = 384
; TotalNumSgprs: 11
; NumVgprs: 13
; ScratchSize: 0
; MemoryBound: 0
; FloatMode: 240
; IeeeMode: 1
; LDSByteSize: 4096 bytes/workgroup (compile time only)
; SGPRBlocks: 1
; VGPRBlocks: 3
; NumSGPRsForWavesPerEU: 11
; NumVGPRsForWavesPerEU: 13
; Occupancy: 10
; WaveLimiterHint : 1
; COMPUTE_PGM_RSRC2:SCRATCH_EN: 0
; COMPUTE_PGM_RSRC2:USER_SGPR: 6
; COMPUTE_PGM_RSRC2:TRAP_HANDLER: 0
; COMPUTE_PGM_RSRC2:TGID_X_EN: 1
; COMPUTE_PGM_RSRC2:TGID_Y_EN: 0
; COMPUTE_PGM_RSRC2:TGID_Z_EN: 0
; COMPUTE_PGM_RSRC2:TIDIG_COMP_CNT: 0
	.section	.text._Z6kernelI10flag_tailsxLj256ELj8ELb1ELj100EEvPKT0_PS1_,"axG",@progbits,_Z6kernelI10flag_tailsxLj256ELj8ELb1ELj100EEvPKT0_PS1_,comdat
	.protected	_Z6kernelI10flag_tailsxLj256ELj8ELb1ELj100EEvPKT0_PS1_ ; -- Begin function _Z6kernelI10flag_tailsxLj256ELj8ELb1ELj100EEvPKT0_PS1_
	.globl	_Z6kernelI10flag_tailsxLj256ELj8ELb1ELj100EEvPKT0_PS1_
	.p2align	8
	.type	_Z6kernelI10flag_tailsxLj256ELj8ELb1ELj100EEvPKT0_PS1_,@function
_Z6kernelI10flag_tailsxLj256ELj8ELb1ELj100EEvPKT0_PS1_: ; @_Z6kernelI10flag_tailsxLj256ELj8ELb1ELj100EEvPKT0_PS1_
; %bb.0:
	s_load_dwordx4 s[0:3], s[4:5], 0x0
	s_lshl_b32 s4, s6, 11
	s_mov_b32 s5, 0
	s_lshl_b64 s[4:5], s[4:5], 3
	v_lshlrev_b32_e32 v19, 3, v0
	s_waitcnt lgkmcnt(0)
	s_add_u32 s0, s0, s4
	s_addc_u32 s1, s1, s5
	v_mov_b32_e32 v1, s1
	v_add_co_u32_e32 v2, vcc, s0, v19
	v_addc_co_u32_e32 v1, vcc, 0, v1, vcc
	s_movk_i32 s6, 0x1000
	v_add_co_u32_e32 v17, vcc, s6, v2
	v_addc_co_u32_e32 v18, vcc, 0, v1, vcc
	s_movk_i32 s6, 0x2000
	v_add_co_u32_e32 v20, vcc, s6, v2
	v_addc_co_u32_e32 v21, vcc, 0, v1, vcc
	v_add_co_u32_e32 v22, vcc, 0x3000, v2
	v_addc_co_u32_e32 v23, vcc, 0, v1, vcc
	global_load_dwordx2 v[13:14], v19, s[0:1]
	global_load_dwordx2 v[15:16], v19, s[0:1] offset:2048
	global_load_dwordx2 v[9:10], v[17:18], off offset:2048
	global_load_dwordx2 v[1:2], v[22:23], off
	global_load_dwordx2 v[11:12], v[20:21], off offset:-4096
	global_load_dwordx2 v[5:6], v[20:21], off
	global_load_dwordx2 v[7:8], v[20:21], off offset:2048
	global_load_dwordx2 v[3:4], v[22:23], off offset:2048
	s_movk_i32 s0, 0xff
	v_cmp_ne_u32_e32 vcc, s0, v0
	s_movk_i32 s6, 0x64
	s_branch .LBB79_2
.LBB79_1:                               ;   in Loop: Header=BB79_2 Depth=1
	s_or_b64 exec, exec, s[0:1]
	v_cmp_eq_u64_e64 s[0:1], v[13:14], v[15:16]
	s_add_i32 s6, s6, -1
	v_cndmask_b32_e64 v20, 0, 1, s[0:1]
	v_add_co_u32_e64 v13, s[0:1], v13, v20
	v_addc_co_u32_e64 v14, s[0:1], 0, v14, s[0:1]
	v_cmp_eq_u64_e64 s[0:1], v[15:16], v[11:12]
	s_cmp_lg_u32 s6, 0
	v_cndmask_b32_e64 v20, 0, 1, s[0:1]
	v_add_co_u32_e64 v15, s[0:1], v15, v20
	v_addc_co_u32_e64 v16, s[0:1], 0, v16, s[0:1]
	v_cmp_eq_u64_e64 s[0:1], v[11:12], v[9:10]
	s_waitcnt lgkmcnt(0)
	v_cndmask_b32_e64 v20, 0, 1, s[0:1]
	v_add_co_u32_e64 v11, s[0:1], v11, v20
	v_addc_co_u32_e64 v12, s[0:1], 0, v12, s[0:1]
	v_cmp_eq_u64_e64 s[0:1], v[9:10], v[5:6]
	s_barrier
	v_cndmask_b32_e64 v20, 0, 1, s[0:1]
	v_add_co_u32_e64 v9, s[0:1], v9, v20
	v_addc_co_u32_e64 v10, s[0:1], 0, v10, s[0:1]
	v_cmp_eq_u64_e64 s[0:1], v[5:6], v[7:8]
	v_cndmask_b32_e64 v20, 0, 1, s[0:1]
	v_add_co_u32_e64 v5, s[0:1], v5, v20
	v_addc_co_u32_e64 v6, s[0:1], 0, v6, s[0:1]
	v_cmp_eq_u64_e64 s[0:1], v[7:8], v[1:2]
	;; [unrolled: 4-line block ×4, first 2 shown]
	v_cndmask_b32_e64 v17, 0, 1, s[0:1]
	v_add_co_u32_e64 v3, s[0:1], v3, v17
	v_addc_co_u32_e64 v4, s[0:1], 0, v4, s[0:1]
	s_cbranch_scc0 .LBB79_4
.LBB79_2:                               ; =>This Inner Loop Header: Depth=1
	v_mov_b32_e32 v17, 0x7b
	v_mov_b32_e32 v18, 0
	s_waitcnt vmcnt(7)
	ds_write_b64 v19, v[13:14] offset:2048
	s_waitcnt vmcnt(0) lgkmcnt(0)
	s_barrier
	s_and_saveexec_b64 s[0:1], vcc
	s_cbranch_execz .LBB79_1
; %bb.3:                                ;   in Loop: Header=BB79_2 Depth=1
	ds_read_b64 v[17:18], v19 offset:2056
	s_branch .LBB79_1
.LBB79_4:
	s_add_u32 s0, s2, s4
	s_addc_u32 s1, s3, s5
	v_lshlrev_b32_e32 v0, 3, v0
	v_mov_b32_e32 v17, s1
	v_add_co_u32_e32 v18, vcc, s0, v0
	v_addc_co_u32_e32 v17, vcc, 0, v17, vcc
	global_store_dwordx2 v0, v[13:14], s[0:1]
	global_store_dwordx2 v0, v[15:16], s[0:1] offset:2048
	v_add_co_u32_e32 v13, vcc, 0x1000, v18
	v_addc_co_u32_e32 v14, vcc, 0, v17, vcc
	global_store_dwordx2 v[13:14], v[11:12], off
	global_store_dwordx2 v[13:14], v[9:10], off offset:2048
	v_add_co_u32_e32 v9, vcc, 0x2000, v18
	v_addc_co_u32_e32 v10, vcc, 0, v17, vcc
	global_store_dwordx2 v[9:10], v[5:6], off
	global_store_dwordx2 v[9:10], v[7:8], off offset:2048
	;; [unrolled: 4-line block ×3, first 2 shown]
	s_endpgm
	.section	.rodata,"a",@progbits
	.p2align	6, 0x0
	.amdhsa_kernel _Z6kernelI10flag_tailsxLj256ELj8ELb1ELj100EEvPKT0_PS1_
		.amdhsa_group_segment_fixed_size 4096
		.amdhsa_private_segment_fixed_size 0
		.amdhsa_kernarg_size 16
		.amdhsa_user_sgpr_count 6
		.amdhsa_user_sgpr_private_segment_buffer 1
		.amdhsa_user_sgpr_dispatch_ptr 0
		.amdhsa_user_sgpr_queue_ptr 0
		.amdhsa_user_sgpr_kernarg_segment_ptr 1
		.amdhsa_user_sgpr_dispatch_id 0
		.amdhsa_user_sgpr_flat_scratch_init 0
		.amdhsa_user_sgpr_private_segment_size 0
		.amdhsa_uses_dynamic_stack 0
		.amdhsa_system_sgpr_private_segment_wavefront_offset 0
		.amdhsa_system_sgpr_workgroup_id_x 1
		.amdhsa_system_sgpr_workgroup_id_y 0
		.amdhsa_system_sgpr_workgroup_id_z 0
		.amdhsa_system_sgpr_workgroup_info 0
		.amdhsa_system_vgpr_workitem_id 0
		.amdhsa_next_free_vgpr 24
		.amdhsa_next_free_sgpr 7
		.amdhsa_reserve_vcc 1
		.amdhsa_reserve_flat_scratch 0
		.amdhsa_float_round_mode_32 0
		.amdhsa_float_round_mode_16_64 0
		.amdhsa_float_denorm_mode_32 3
		.amdhsa_float_denorm_mode_16_64 3
		.amdhsa_dx10_clamp 1
		.amdhsa_ieee_mode 1
		.amdhsa_fp16_overflow 0
		.amdhsa_exception_fp_ieee_invalid_op 0
		.amdhsa_exception_fp_denorm_src 0
		.amdhsa_exception_fp_ieee_div_zero 0
		.amdhsa_exception_fp_ieee_overflow 0
		.amdhsa_exception_fp_ieee_underflow 0
		.amdhsa_exception_fp_ieee_inexact 0
		.amdhsa_exception_int_div_zero 0
	.end_amdhsa_kernel
	.section	.text._Z6kernelI10flag_tailsxLj256ELj8ELb1ELj100EEvPKT0_PS1_,"axG",@progbits,_Z6kernelI10flag_tailsxLj256ELj8ELb1ELj100EEvPKT0_PS1_,comdat
.Lfunc_end79:
	.size	_Z6kernelI10flag_tailsxLj256ELj8ELb1ELj100EEvPKT0_PS1_, .Lfunc_end79-_Z6kernelI10flag_tailsxLj256ELj8ELb1ELj100EEvPKT0_PS1_
                                        ; -- End function
	.set _Z6kernelI10flag_tailsxLj256ELj8ELb1ELj100EEvPKT0_PS1_.num_vgpr, 24
	.set _Z6kernelI10flag_tailsxLj256ELj8ELb1ELj100EEvPKT0_PS1_.num_agpr, 0
	.set _Z6kernelI10flag_tailsxLj256ELj8ELb1ELj100EEvPKT0_PS1_.numbered_sgpr, 7
	.set _Z6kernelI10flag_tailsxLj256ELj8ELb1ELj100EEvPKT0_PS1_.num_named_barrier, 0
	.set _Z6kernelI10flag_tailsxLj256ELj8ELb1ELj100EEvPKT0_PS1_.private_seg_size, 0
	.set _Z6kernelI10flag_tailsxLj256ELj8ELb1ELj100EEvPKT0_PS1_.uses_vcc, 1
	.set _Z6kernelI10flag_tailsxLj256ELj8ELb1ELj100EEvPKT0_PS1_.uses_flat_scratch, 0
	.set _Z6kernelI10flag_tailsxLj256ELj8ELb1ELj100EEvPKT0_PS1_.has_dyn_sized_stack, 0
	.set _Z6kernelI10flag_tailsxLj256ELj8ELb1ELj100EEvPKT0_PS1_.has_recursion, 0
	.set _Z6kernelI10flag_tailsxLj256ELj8ELb1ELj100EEvPKT0_PS1_.has_indirect_call, 0
	.section	.AMDGPU.csdata,"",@progbits
; Kernel info:
; codeLenInByte = 624
; TotalNumSgprs: 11
; NumVgprs: 24
; ScratchSize: 0
; MemoryBound: 0
; FloatMode: 240
; IeeeMode: 1
; LDSByteSize: 4096 bytes/workgroup (compile time only)
; SGPRBlocks: 1
; VGPRBlocks: 5
; NumSGPRsForWavesPerEU: 11
; NumVGPRsForWavesPerEU: 24
; Occupancy: 10
; WaveLimiterHint : 1
; COMPUTE_PGM_RSRC2:SCRATCH_EN: 0
; COMPUTE_PGM_RSRC2:USER_SGPR: 6
; COMPUTE_PGM_RSRC2:TRAP_HANDLER: 0
; COMPUTE_PGM_RSRC2:TGID_X_EN: 1
; COMPUTE_PGM_RSRC2:TGID_Y_EN: 0
; COMPUTE_PGM_RSRC2:TGID_Z_EN: 0
; COMPUTE_PGM_RSRC2:TIDIG_COMP_CNT: 0
	.section	.text._Z6kernelI20flag_heads_and_tailsiLj256ELj1ELb0ELj100EEvPKT0_PS1_,"axG",@progbits,_Z6kernelI20flag_heads_and_tailsiLj256ELj1ELb0ELj100EEvPKT0_PS1_,comdat
	.protected	_Z6kernelI20flag_heads_and_tailsiLj256ELj1ELb0ELj100EEvPKT0_PS1_ ; -- Begin function _Z6kernelI20flag_heads_and_tailsiLj256ELj1ELb0ELj100EEvPKT0_PS1_
	.globl	_Z6kernelI20flag_heads_and_tailsiLj256ELj1ELb0ELj100EEvPKT0_PS1_
	.p2align	8
	.type	_Z6kernelI20flag_heads_and_tailsiLj256ELj1ELb0ELj100EEvPKT0_PS1_,@function
_Z6kernelI20flag_heads_and_tailsiLj256ELj1ELb0ELj100EEvPKT0_PS1_: ; @_Z6kernelI20flag_heads_and_tailsiLj256ELj1ELb0ELj100EEvPKT0_PS1_
; %bb.0:
	s_load_dwordx4 s[8:11], s[4:5], 0x0
	s_lshl_b32 s0, s6, 8
	s_mov_b32 s1, 0
	s_lshl_b64 s[4:5], s[0:1], 2
	v_lshlrev_b32_e32 v2, 2, v0
	s_waitcnt lgkmcnt(0)
	s_add_u32 s0, s8, s4
	s_addc_u32 s1, s9, s5
	global_load_dword v1, v2, s[0:1]
	s_movk_i32 s0, 0xff
	v_cmp_ne_u32_e32 vcc, 0, v0
	v_cmp_ne_u32_e64 s[0:1], s0, v0
	v_add_u32_e32 v3, -4, v2
	s_movk_i32 s8, 0x64
	s_branch .LBB80_2
.LBB80_1:                               ;   in Loop: Header=BB80_2 Depth=1
	s_or_b64 exec, exec, s[6:7]
	s_add_i32 s8, s8, -1
	v_add3_u32 v1, v5, v1, v4
	s_cmp_lg_u32 s8, 0
	s_barrier
	s_cbranch_scc0 .LBB80_6
.LBB80_2:                               ; =>This Inner Loop Header: Depth=1
	v_mov_b32_e32 v4, 1
	v_mov_b32_e32 v5, 1
	s_waitcnt vmcnt(0)
	ds_write_b32 v2, v1
	s_waitcnt lgkmcnt(0)
	s_barrier
	s_and_saveexec_b64 s[6:7], vcc
	s_cbranch_execz .LBB80_4
; %bb.3:                                ;   in Loop: Header=BB80_2 Depth=1
	ds_read_b32 v5, v3
	s_waitcnt lgkmcnt(0)
	v_cmp_eq_u32_e64 s[2:3], v5, v1
	v_cndmask_b32_e64 v5, 0, 1, s[2:3]
.LBB80_4:                               ;   in Loop: Header=BB80_2 Depth=1
	s_or_b64 exec, exec, s[6:7]
	ds_write_b32 v2, v1 offset:1024
	s_waitcnt lgkmcnt(0)
	s_barrier
	s_and_saveexec_b64 s[6:7], s[0:1]
	s_cbranch_execz .LBB80_1
; %bb.5:                                ;   in Loop: Header=BB80_2 Depth=1
	ds_read_b32 v4, v2 offset:1028
	s_waitcnt lgkmcnt(0)
	v_cmp_eq_u32_e64 s[2:3], v1, v4
	v_cndmask_b32_e64 v4, 0, 1, s[2:3]
	s_branch .LBB80_1
.LBB80_6:
	s_add_u32 s0, s10, s4
	s_addc_u32 s1, s11, s5
	v_lshlrev_b32_e32 v0, 2, v0
	global_store_dword v0, v1, s[0:1]
	s_endpgm
	.section	.rodata,"a",@progbits
	.p2align	6, 0x0
	.amdhsa_kernel _Z6kernelI20flag_heads_and_tailsiLj256ELj1ELb0ELj100EEvPKT0_PS1_
		.amdhsa_group_segment_fixed_size 2048
		.amdhsa_private_segment_fixed_size 0
		.amdhsa_kernarg_size 16
		.amdhsa_user_sgpr_count 6
		.amdhsa_user_sgpr_private_segment_buffer 1
		.amdhsa_user_sgpr_dispatch_ptr 0
		.amdhsa_user_sgpr_queue_ptr 0
		.amdhsa_user_sgpr_kernarg_segment_ptr 1
		.amdhsa_user_sgpr_dispatch_id 0
		.amdhsa_user_sgpr_flat_scratch_init 0
		.amdhsa_user_sgpr_private_segment_size 0
		.amdhsa_uses_dynamic_stack 0
		.amdhsa_system_sgpr_private_segment_wavefront_offset 0
		.amdhsa_system_sgpr_workgroup_id_x 1
		.amdhsa_system_sgpr_workgroup_id_y 0
		.amdhsa_system_sgpr_workgroup_id_z 0
		.amdhsa_system_sgpr_workgroup_info 0
		.amdhsa_system_vgpr_workitem_id 0
		.amdhsa_next_free_vgpr 6
		.amdhsa_next_free_sgpr 12
		.amdhsa_reserve_vcc 1
		.amdhsa_reserve_flat_scratch 0
		.amdhsa_float_round_mode_32 0
		.amdhsa_float_round_mode_16_64 0
		.amdhsa_float_denorm_mode_32 3
		.amdhsa_float_denorm_mode_16_64 3
		.amdhsa_dx10_clamp 1
		.amdhsa_ieee_mode 1
		.amdhsa_fp16_overflow 0
		.amdhsa_exception_fp_ieee_invalid_op 0
		.amdhsa_exception_fp_denorm_src 0
		.amdhsa_exception_fp_ieee_div_zero 0
		.amdhsa_exception_fp_ieee_overflow 0
		.amdhsa_exception_fp_ieee_underflow 0
		.amdhsa_exception_fp_ieee_inexact 0
		.amdhsa_exception_int_div_zero 0
	.end_amdhsa_kernel
	.section	.text._Z6kernelI20flag_heads_and_tailsiLj256ELj1ELb0ELj100EEvPKT0_PS1_,"axG",@progbits,_Z6kernelI20flag_heads_and_tailsiLj256ELj1ELb0ELj100EEvPKT0_PS1_,comdat
.Lfunc_end80:
	.size	_Z6kernelI20flag_heads_and_tailsiLj256ELj1ELb0ELj100EEvPKT0_PS1_, .Lfunc_end80-_Z6kernelI20flag_heads_and_tailsiLj256ELj1ELb0ELj100EEvPKT0_PS1_
                                        ; -- End function
	.set _Z6kernelI20flag_heads_and_tailsiLj256ELj1ELb0ELj100EEvPKT0_PS1_.num_vgpr, 6
	.set _Z6kernelI20flag_heads_and_tailsiLj256ELj1ELb0ELj100EEvPKT0_PS1_.num_agpr, 0
	.set _Z6kernelI20flag_heads_and_tailsiLj256ELj1ELb0ELj100EEvPKT0_PS1_.numbered_sgpr, 12
	.set _Z6kernelI20flag_heads_and_tailsiLj256ELj1ELb0ELj100EEvPKT0_PS1_.num_named_barrier, 0
	.set _Z6kernelI20flag_heads_and_tailsiLj256ELj1ELb0ELj100EEvPKT0_PS1_.private_seg_size, 0
	.set _Z6kernelI20flag_heads_and_tailsiLj256ELj1ELb0ELj100EEvPKT0_PS1_.uses_vcc, 1
	.set _Z6kernelI20flag_heads_and_tailsiLj256ELj1ELb0ELj100EEvPKT0_PS1_.uses_flat_scratch, 0
	.set _Z6kernelI20flag_heads_and_tailsiLj256ELj1ELb0ELj100EEvPKT0_PS1_.has_dyn_sized_stack, 0
	.set _Z6kernelI20flag_heads_and_tailsiLj256ELj1ELb0ELj100EEvPKT0_PS1_.has_recursion, 0
	.set _Z6kernelI20flag_heads_and_tailsiLj256ELj1ELb0ELj100EEvPKT0_PS1_.has_indirect_call, 0
	.section	.AMDGPU.csdata,"",@progbits
; Kernel info:
; codeLenInByte = 248
; TotalNumSgprs: 16
; NumVgprs: 6
; ScratchSize: 0
; MemoryBound: 0
; FloatMode: 240
; IeeeMode: 1
; LDSByteSize: 2048 bytes/workgroup (compile time only)
; SGPRBlocks: 1
; VGPRBlocks: 1
; NumSGPRsForWavesPerEU: 16
; NumVGPRsForWavesPerEU: 6
; Occupancy: 10
; WaveLimiterHint : 0
; COMPUTE_PGM_RSRC2:SCRATCH_EN: 0
; COMPUTE_PGM_RSRC2:USER_SGPR: 6
; COMPUTE_PGM_RSRC2:TRAP_HANDLER: 0
; COMPUTE_PGM_RSRC2:TGID_X_EN: 1
; COMPUTE_PGM_RSRC2:TGID_Y_EN: 0
; COMPUTE_PGM_RSRC2:TGID_Z_EN: 0
; COMPUTE_PGM_RSRC2:TIDIG_COMP_CNT: 0
	.section	.text._Z6kernelI20flag_heads_and_tailsiLj256ELj2ELb0ELj100EEvPKT0_PS1_,"axG",@progbits,_Z6kernelI20flag_heads_and_tailsiLj256ELj2ELb0ELj100EEvPKT0_PS1_,comdat
	.protected	_Z6kernelI20flag_heads_and_tailsiLj256ELj2ELb0ELj100EEvPKT0_PS1_ ; -- Begin function _Z6kernelI20flag_heads_and_tailsiLj256ELj2ELb0ELj100EEvPKT0_PS1_
	.globl	_Z6kernelI20flag_heads_and_tailsiLj256ELj2ELb0ELj100EEvPKT0_PS1_
	.p2align	8
	.type	_Z6kernelI20flag_heads_and_tailsiLj256ELj2ELb0ELj100EEvPKT0_PS1_,@function
_Z6kernelI20flag_heads_and_tailsiLj256ELj2ELb0ELj100EEvPKT0_PS1_: ; @_Z6kernelI20flag_heads_and_tailsiLj256ELj2ELb0ELj100EEvPKT0_PS1_
; %bb.0:
	s_load_dwordx4 s[8:11], s[4:5], 0x0
	s_lshl_b32 s0, s6, 9
	s_mov_b32 s1, 0
	s_lshl_b64 s[6:7], s[0:1], 2
	v_lshlrev_b32_e32 v3, 2, v0
	s_waitcnt lgkmcnt(0)
	s_add_u32 s0, s8, s6
	s_addc_u32 s1, s9, s7
	global_load_dword v1, v3, s[0:1]
	global_load_dword v2, v3, s[0:1] offset:1024
	s_movk_i32 s0, 0xff
	v_cmp_ne_u32_e32 vcc, 0, v0
	v_cmp_ne_u32_e64 s[0:1], s0, v0
	v_add_u32_e32 v4, -4, v3
	s_movk_i32 s12, 0x64
	s_branch .LBB81_2
.LBB81_1:                               ;   in Loop: Header=BB81_2 Depth=1
	s_or_b64 exec, exec, s[4:5]
	v_and_b32_e32 v8, 0xff, v7
	v_and_b32_e32 v6, 0xff, v6
	;; [unrolled: 1-line block ×4, first 2 shown]
	s_add_i32 s12, s12, -1
	v_add3_u32 v1, v1, v6, v7
	v_add3_u32 v2, v2, v8, v5
	s_cmp_lg_u32 s12, 0
	s_barrier
	s_cbranch_scc0 .LBB81_6
.LBB81_2:                               ; =>This Inner Loop Header: Depth=1
	s_waitcnt vmcnt(0)
	v_cmp_eq_u32_e64 s[2:3], v1, v2
	v_mov_b32_e32 v5, 1
	v_mov_b32_e32 v6, 1
	ds_write_b32 v3, v2
	s_waitcnt lgkmcnt(0)
	s_barrier
	s_and_saveexec_b64 s[8:9], vcc
	s_cbranch_execz .LBB81_4
; %bb.3:                                ;   in Loop: Header=BB81_2 Depth=1
	ds_read_b32 v6, v4
	s_waitcnt lgkmcnt(0)
	v_cmp_eq_u32_e64 s[4:5], v6, v1
	v_cndmask_b32_e64 v6, 0, 1, s[4:5]
.LBB81_4:                               ;   in Loop: Header=BB81_2 Depth=1
	s_or_b64 exec, exec, s[8:9]
	v_cndmask_b32_e64 v7, 0, 1, s[2:3]
	ds_write_b32 v3, v1 offset:1024
	s_waitcnt lgkmcnt(0)
	s_barrier
	s_and_saveexec_b64 s[4:5], s[0:1]
	s_cbranch_execz .LBB81_1
; %bb.5:                                ;   in Loop: Header=BB81_2 Depth=1
	ds_read_b32 v5, v3 offset:1028
	s_waitcnt lgkmcnt(0)
	v_cmp_eq_u32_e64 s[2:3], v2, v5
	v_cndmask_b32_e64 v5, 0, 1, s[2:3]
	s_branch .LBB81_1
.LBB81_6:
	s_add_u32 s0, s10, s6
	s_addc_u32 s1, s11, s7
	v_lshlrev_b32_e32 v0, 2, v0
	global_store_dword v0, v1, s[0:1]
	global_store_dword v0, v2, s[0:1] offset:1024
	s_endpgm
	.section	.rodata,"a",@progbits
	.p2align	6, 0x0
	.amdhsa_kernel _Z6kernelI20flag_heads_and_tailsiLj256ELj2ELb0ELj100EEvPKT0_PS1_
		.amdhsa_group_segment_fixed_size 2048
		.amdhsa_private_segment_fixed_size 0
		.amdhsa_kernarg_size 16
		.amdhsa_user_sgpr_count 6
		.amdhsa_user_sgpr_private_segment_buffer 1
		.amdhsa_user_sgpr_dispatch_ptr 0
		.amdhsa_user_sgpr_queue_ptr 0
		.amdhsa_user_sgpr_kernarg_segment_ptr 1
		.amdhsa_user_sgpr_dispatch_id 0
		.amdhsa_user_sgpr_flat_scratch_init 0
		.amdhsa_user_sgpr_private_segment_size 0
		.amdhsa_uses_dynamic_stack 0
		.amdhsa_system_sgpr_private_segment_wavefront_offset 0
		.amdhsa_system_sgpr_workgroup_id_x 1
		.amdhsa_system_sgpr_workgroup_id_y 0
		.amdhsa_system_sgpr_workgroup_id_z 0
		.amdhsa_system_sgpr_workgroup_info 0
		.amdhsa_system_vgpr_workitem_id 0
		.amdhsa_next_free_vgpr 9
		.amdhsa_next_free_sgpr 13
		.amdhsa_reserve_vcc 1
		.amdhsa_reserve_flat_scratch 0
		.amdhsa_float_round_mode_32 0
		.amdhsa_float_round_mode_16_64 0
		.amdhsa_float_denorm_mode_32 3
		.amdhsa_float_denorm_mode_16_64 3
		.amdhsa_dx10_clamp 1
		.amdhsa_ieee_mode 1
		.amdhsa_fp16_overflow 0
		.amdhsa_exception_fp_ieee_invalid_op 0
		.amdhsa_exception_fp_denorm_src 0
		.amdhsa_exception_fp_ieee_div_zero 0
		.amdhsa_exception_fp_ieee_overflow 0
		.amdhsa_exception_fp_ieee_underflow 0
		.amdhsa_exception_fp_ieee_inexact 0
		.amdhsa_exception_int_div_zero 0
	.end_amdhsa_kernel
	.section	.text._Z6kernelI20flag_heads_and_tailsiLj256ELj2ELb0ELj100EEvPKT0_PS1_,"axG",@progbits,_Z6kernelI20flag_heads_and_tailsiLj256ELj2ELb0ELj100EEvPKT0_PS1_,comdat
.Lfunc_end81:
	.size	_Z6kernelI20flag_heads_and_tailsiLj256ELj2ELb0ELj100EEvPKT0_PS1_, .Lfunc_end81-_Z6kernelI20flag_heads_and_tailsiLj256ELj2ELb0ELj100EEvPKT0_PS1_
                                        ; -- End function
	.set _Z6kernelI20flag_heads_and_tailsiLj256ELj2ELb0ELj100EEvPKT0_PS1_.num_vgpr, 9
	.set _Z6kernelI20flag_heads_and_tailsiLj256ELj2ELb0ELj100EEvPKT0_PS1_.num_agpr, 0
	.set _Z6kernelI20flag_heads_and_tailsiLj256ELj2ELb0ELj100EEvPKT0_PS1_.numbered_sgpr, 13
	.set _Z6kernelI20flag_heads_and_tailsiLj256ELj2ELb0ELj100EEvPKT0_PS1_.num_named_barrier, 0
	.set _Z6kernelI20flag_heads_and_tailsiLj256ELj2ELb0ELj100EEvPKT0_PS1_.private_seg_size, 0
	.set _Z6kernelI20flag_heads_and_tailsiLj256ELj2ELb0ELj100EEvPKT0_PS1_.uses_vcc, 1
	.set _Z6kernelI20flag_heads_and_tailsiLj256ELj2ELb0ELj100EEvPKT0_PS1_.uses_flat_scratch, 0
	.set _Z6kernelI20flag_heads_and_tailsiLj256ELj2ELb0ELj100EEvPKT0_PS1_.has_dyn_sized_stack, 0
	.set _Z6kernelI20flag_heads_and_tailsiLj256ELj2ELb0ELj100EEvPKT0_PS1_.has_recursion, 0
	.set _Z6kernelI20flag_heads_and_tailsiLj256ELj2ELb0ELj100EEvPKT0_PS1_.has_indirect_call, 0
	.section	.AMDGPU.csdata,"",@progbits
; Kernel info:
; codeLenInByte = 320
; TotalNumSgprs: 17
; NumVgprs: 9
; ScratchSize: 0
; MemoryBound: 0
; FloatMode: 240
; IeeeMode: 1
; LDSByteSize: 2048 bytes/workgroup (compile time only)
; SGPRBlocks: 2
; VGPRBlocks: 2
; NumSGPRsForWavesPerEU: 17
; NumVGPRsForWavesPerEU: 9
; Occupancy: 10
; WaveLimiterHint : 1
; COMPUTE_PGM_RSRC2:SCRATCH_EN: 0
; COMPUTE_PGM_RSRC2:USER_SGPR: 6
; COMPUTE_PGM_RSRC2:TRAP_HANDLER: 0
; COMPUTE_PGM_RSRC2:TGID_X_EN: 1
; COMPUTE_PGM_RSRC2:TGID_Y_EN: 0
; COMPUTE_PGM_RSRC2:TGID_Z_EN: 0
; COMPUTE_PGM_RSRC2:TIDIG_COMP_CNT: 0
	.section	.text._Z6kernelI20flag_heads_and_tailsiLj256ELj3ELb0ELj100EEvPKT0_PS1_,"axG",@progbits,_Z6kernelI20flag_heads_and_tailsiLj256ELj3ELb0ELj100EEvPKT0_PS1_,comdat
	.protected	_Z6kernelI20flag_heads_and_tailsiLj256ELj3ELb0ELj100EEvPKT0_PS1_ ; -- Begin function _Z6kernelI20flag_heads_and_tailsiLj256ELj3ELb0ELj100EEvPKT0_PS1_
	.globl	_Z6kernelI20flag_heads_and_tailsiLj256ELj3ELb0ELj100EEvPKT0_PS1_
	.p2align	8
	.type	_Z6kernelI20flag_heads_and_tailsiLj256ELj3ELb0ELj100EEvPKT0_PS1_,@function
_Z6kernelI20flag_heads_and_tailsiLj256ELj3ELb0ELj100EEvPKT0_PS1_: ; @_Z6kernelI20flag_heads_and_tailsiLj256ELj3ELb0ELj100EEvPKT0_PS1_
; %bb.0:
	s_load_dwordx4 s[8:11], s[4:5], 0x0
	s_mul_i32 s0, s6, 0x300
	s_mov_b32 s1, 0
	s_lshl_b64 s[12:13], s[0:1], 2
	v_lshlrev_b32_e32 v4, 2, v0
	s_waitcnt lgkmcnt(0)
	s_add_u32 s0, s8, s12
	s_addc_u32 s1, s9, s13
	global_load_dword v1, v4, s[0:1]
	global_load_dword v2, v4, s[0:1] offset:1024
	global_load_dword v3, v4, s[0:1] offset:2048
	s_movk_i32 s0, 0xff
	v_cmp_ne_u32_e32 vcc, 0, v0
	v_cmp_ne_u32_e64 s[0:1], s0, v0
	v_add_u32_e32 v5, -4, v4
	s_movk_i32 s14, 0x64
	s_branch .LBB82_2
.LBB82_1:                               ;   in Loop: Header=BB82_2 Depth=1
	s_or_b64 exec, exec, s[4:5]
	v_and_b32_e32 v10, 0xff, v9
	v_and_b32_e32 v7, 0xff, v7
	;; [unrolled: 1-line block ×4, first 2 shown]
	v_add3_u32 v1, v1, v7, v9
	v_and_b32_e32 v7, 0xff, v8
	v_and_b32_e32 v6, 0xff, v6
	s_add_i32 s14, s14, -1
	v_add3_u32 v2, v2, v10, v11
	v_add3_u32 v3, v3, v7, v6
	s_cmp_lg_u32 s14, 0
	s_barrier
	s_cbranch_scc0 .LBB82_6
.LBB82_2:                               ; =>This Inner Loop Header: Depth=1
	s_waitcnt vmcnt(0)
	v_cmp_eq_u32_e64 s[2:3], v2, v3
	v_cmp_eq_u32_e64 s[4:5], v1, v2
	v_mov_b32_e32 v6, 1
	v_mov_b32_e32 v7, 1
	ds_write_b32 v4, v3
	s_waitcnt lgkmcnt(0)
	s_barrier
	s_and_saveexec_b64 s[8:9], vcc
	s_cbranch_execz .LBB82_4
; %bb.3:                                ;   in Loop: Header=BB82_2 Depth=1
	ds_read_b32 v7, v5
	s_waitcnt lgkmcnt(0)
	v_cmp_eq_u32_e64 s[6:7], v7, v1
	v_cndmask_b32_e64 v7, 0, 1, s[6:7]
.LBB82_4:                               ;   in Loop: Header=BB82_2 Depth=1
	s_or_b64 exec, exec, s[8:9]
	v_cndmask_b32_e64 v8, 0, 1, s[2:3]
	v_cndmask_b32_e64 v9, 0, 1, s[4:5]
	ds_write_b32 v4, v1 offset:1024
	s_waitcnt lgkmcnt(0)
	s_barrier
	s_and_saveexec_b64 s[4:5], s[0:1]
	s_cbranch_execz .LBB82_1
; %bb.5:                                ;   in Loop: Header=BB82_2 Depth=1
	ds_read_b32 v6, v4 offset:1028
	s_waitcnt lgkmcnt(0)
	v_cmp_eq_u32_e64 s[2:3], v3, v6
	v_cndmask_b32_e64 v6, 0, 1, s[2:3]
	s_branch .LBB82_1
.LBB82_6:
	s_add_u32 s0, s10, s12
	s_addc_u32 s1, s11, s13
	v_lshlrev_b32_e32 v0, 2, v0
	global_store_dword v0, v1, s[0:1]
	global_store_dword v0, v2, s[0:1] offset:1024
	global_store_dword v0, v3, s[0:1] offset:2048
	s_endpgm
	.section	.rodata,"a",@progbits
	.p2align	6, 0x0
	.amdhsa_kernel _Z6kernelI20flag_heads_and_tailsiLj256ELj3ELb0ELj100EEvPKT0_PS1_
		.amdhsa_group_segment_fixed_size 2048
		.amdhsa_private_segment_fixed_size 0
		.amdhsa_kernarg_size 16
		.amdhsa_user_sgpr_count 6
		.amdhsa_user_sgpr_private_segment_buffer 1
		.amdhsa_user_sgpr_dispatch_ptr 0
		.amdhsa_user_sgpr_queue_ptr 0
		.amdhsa_user_sgpr_kernarg_segment_ptr 1
		.amdhsa_user_sgpr_dispatch_id 0
		.amdhsa_user_sgpr_flat_scratch_init 0
		.amdhsa_user_sgpr_private_segment_size 0
		.amdhsa_uses_dynamic_stack 0
		.amdhsa_system_sgpr_private_segment_wavefront_offset 0
		.amdhsa_system_sgpr_workgroup_id_x 1
		.amdhsa_system_sgpr_workgroup_id_y 0
		.amdhsa_system_sgpr_workgroup_id_z 0
		.amdhsa_system_sgpr_workgroup_info 0
		.amdhsa_system_vgpr_workitem_id 0
		.amdhsa_next_free_vgpr 12
		.amdhsa_next_free_sgpr 15
		.amdhsa_reserve_vcc 1
		.amdhsa_reserve_flat_scratch 0
		.amdhsa_float_round_mode_32 0
		.amdhsa_float_round_mode_16_64 0
		.amdhsa_float_denorm_mode_32 3
		.amdhsa_float_denorm_mode_16_64 3
		.amdhsa_dx10_clamp 1
		.amdhsa_ieee_mode 1
		.amdhsa_fp16_overflow 0
		.amdhsa_exception_fp_ieee_invalid_op 0
		.amdhsa_exception_fp_denorm_src 0
		.amdhsa_exception_fp_ieee_div_zero 0
		.amdhsa_exception_fp_ieee_overflow 0
		.amdhsa_exception_fp_ieee_underflow 0
		.amdhsa_exception_fp_ieee_inexact 0
		.amdhsa_exception_int_div_zero 0
	.end_amdhsa_kernel
	.section	.text._Z6kernelI20flag_heads_and_tailsiLj256ELj3ELb0ELj100EEvPKT0_PS1_,"axG",@progbits,_Z6kernelI20flag_heads_and_tailsiLj256ELj3ELb0ELj100EEvPKT0_PS1_,comdat
.Lfunc_end82:
	.size	_Z6kernelI20flag_heads_and_tailsiLj256ELj3ELb0ELj100EEvPKT0_PS1_, .Lfunc_end82-_Z6kernelI20flag_heads_and_tailsiLj256ELj3ELb0ELj100EEvPKT0_PS1_
                                        ; -- End function
	.set _Z6kernelI20flag_heads_and_tailsiLj256ELj3ELb0ELj100EEvPKT0_PS1_.num_vgpr, 12
	.set _Z6kernelI20flag_heads_and_tailsiLj256ELj3ELb0ELj100EEvPKT0_PS1_.num_agpr, 0
	.set _Z6kernelI20flag_heads_and_tailsiLj256ELj3ELb0ELj100EEvPKT0_PS1_.numbered_sgpr, 15
	.set _Z6kernelI20flag_heads_and_tailsiLj256ELj3ELb0ELj100EEvPKT0_PS1_.num_named_barrier, 0
	.set _Z6kernelI20flag_heads_and_tailsiLj256ELj3ELb0ELj100EEvPKT0_PS1_.private_seg_size, 0
	.set _Z6kernelI20flag_heads_and_tailsiLj256ELj3ELb0ELj100EEvPKT0_PS1_.uses_vcc, 1
	.set _Z6kernelI20flag_heads_and_tailsiLj256ELj3ELb0ELj100EEvPKT0_PS1_.uses_flat_scratch, 0
	.set _Z6kernelI20flag_heads_and_tailsiLj256ELj3ELb0ELj100EEvPKT0_PS1_.has_dyn_sized_stack, 0
	.set _Z6kernelI20flag_heads_and_tailsiLj256ELj3ELb0ELj100EEvPKT0_PS1_.has_recursion, 0
	.set _Z6kernelI20flag_heads_and_tailsiLj256ELj3ELb0ELj100EEvPKT0_PS1_.has_indirect_call, 0
	.section	.AMDGPU.csdata,"",@progbits
; Kernel info:
; codeLenInByte = 380
; TotalNumSgprs: 19
; NumVgprs: 12
; ScratchSize: 0
; MemoryBound: 0
; FloatMode: 240
; IeeeMode: 1
; LDSByteSize: 2048 bytes/workgroup (compile time only)
; SGPRBlocks: 2
; VGPRBlocks: 2
; NumSGPRsForWavesPerEU: 19
; NumVGPRsForWavesPerEU: 12
; Occupancy: 10
; WaveLimiterHint : 1
; COMPUTE_PGM_RSRC2:SCRATCH_EN: 0
; COMPUTE_PGM_RSRC2:USER_SGPR: 6
; COMPUTE_PGM_RSRC2:TRAP_HANDLER: 0
; COMPUTE_PGM_RSRC2:TGID_X_EN: 1
; COMPUTE_PGM_RSRC2:TGID_Y_EN: 0
; COMPUTE_PGM_RSRC2:TGID_Z_EN: 0
; COMPUTE_PGM_RSRC2:TIDIG_COMP_CNT: 0
	.section	.text._Z6kernelI20flag_heads_and_tailsiLj256ELj4ELb0ELj100EEvPKT0_PS1_,"axG",@progbits,_Z6kernelI20flag_heads_and_tailsiLj256ELj4ELb0ELj100EEvPKT0_PS1_,comdat
	.protected	_Z6kernelI20flag_heads_and_tailsiLj256ELj4ELb0ELj100EEvPKT0_PS1_ ; -- Begin function _Z6kernelI20flag_heads_and_tailsiLj256ELj4ELb0ELj100EEvPKT0_PS1_
	.globl	_Z6kernelI20flag_heads_and_tailsiLj256ELj4ELb0ELj100EEvPKT0_PS1_
	.p2align	8
	.type	_Z6kernelI20flag_heads_and_tailsiLj256ELj4ELb0ELj100EEvPKT0_PS1_,@function
_Z6kernelI20flag_heads_and_tailsiLj256ELj4ELb0ELj100EEvPKT0_PS1_: ; @_Z6kernelI20flag_heads_and_tailsiLj256ELj4ELb0ELj100EEvPKT0_PS1_
; %bb.0:
	s_load_dwordx4 s[8:11], s[4:5], 0x0
	s_lshl_b32 s0, s6, 10
	s_mov_b32 s1, 0
	s_lshl_b64 s[12:13], s[0:1], 2
	v_lshlrev_b32_e32 v5, 2, v0
	s_waitcnt lgkmcnt(0)
	s_add_u32 s0, s8, s12
	s_addc_u32 s1, s9, s13
	global_load_dword v1, v5, s[0:1]
	global_load_dword v2, v5, s[0:1] offset:1024
	global_load_dword v3, v5, s[0:1] offset:2048
	;; [unrolled: 1-line block ×3, first 2 shown]
	s_movk_i32 s0, 0xff
	v_cmp_ne_u32_e32 vcc, 0, v0
	v_cmp_ne_u32_e64 s[0:1], s0, v0
	v_add_u32_e32 v6, -4, v5
	s_movk_i32 s16, 0x64
	s_branch .LBB83_2
.LBB83_1:                               ;   in Loop: Header=BB83_2 Depth=1
	s_or_b64 exec, exec, s[4:5]
	v_and_b32_e32 v12, 0xff, v11
	v_and_b32_e32 v13, 0xff, v10
	;; [unrolled: 1-line block ×8, first 2 shown]
	s_add_i32 s16, s16, -1
	v_add3_u32 v1, v1, v8, v9
	v_add3_u32 v2, v2, v14, v10
	;; [unrolled: 1-line block ×4, first 2 shown]
	s_cmp_lg_u32 s16, 0
	s_barrier
	s_cbranch_scc0 .LBB83_6
.LBB83_2:                               ; =>This Inner Loop Header: Depth=1
	s_waitcnt vmcnt(0)
	v_cmp_eq_u32_e64 s[2:3], v3, v4
	v_cmp_eq_u32_e64 s[4:5], v2, v3
	;; [unrolled: 1-line block ×3, first 2 shown]
	v_mov_b32_e32 v7, 1
	v_mov_b32_e32 v8, 1
	ds_write_b32 v5, v4
	s_waitcnt lgkmcnt(0)
	s_barrier
	s_and_saveexec_b64 s[14:15], vcc
	s_cbranch_execz .LBB83_4
; %bb.3:                                ;   in Loop: Header=BB83_2 Depth=1
	ds_read_b32 v8, v6
	s_waitcnt lgkmcnt(0)
	v_cmp_eq_u32_e64 s[8:9], v8, v1
	v_cndmask_b32_e64 v8, 0, 1, s[8:9]
.LBB83_4:                               ;   in Loop: Header=BB83_2 Depth=1
	s_or_b64 exec, exec, s[14:15]
	v_cndmask_b32_e64 v11, 0, 1, s[2:3]
	v_cndmask_b32_e64 v10, 0, 1, s[4:5]
	;; [unrolled: 1-line block ×3, first 2 shown]
	ds_write_b32 v5, v1 offset:1024
	s_waitcnt lgkmcnt(0)
	s_barrier
	s_and_saveexec_b64 s[4:5], s[0:1]
	s_cbranch_execz .LBB83_1
; %bb.5:                                ;   in Loop: Header=BB83_2 Depth=1
	ds_read_b32 v7, v5 offset:1028
	s_waitcnt lgkmcnt(0)
	v_cmp_eq_u32_e64 s[2:3], v4, v7
	v_cndmask_b32_e64 v7, 0, 1, s[2:3]
	s_branch .LBB83_1
.LBB83_6:
	s_add_u32 s0, s10, s12
	s_addc_u32 s1, s11, s13
	v_lshlrev_b32_e32 v0, 2, v0
	global_store_dword v0, v1, s[0:1]
	global_store_dword v0, v2, s[0:1] offset:1024
	global_store_dword v0, v3, s[0:1] offset:2048
	;; [unrolled: 1-line block ×3, first 2 shown]
	s_endpgm
	.section	.rodata,"a",@progbits
	.p2align	6, 0x0
	.amdhsa_kernel _Z6kernelI20flag_heads_and_tailsiLj256ELj4ELb0ELj100EEvPKT0_PS1_
		.amdhsa_group_segment_fixed_size 2048
		.amdhsa_private_segment_fixed_size 0
		.amdhsa_kernarg_size 16
		.amdhsa_user_sgpr_count 6
		.amdhsa_user_sgpr_private_segment_buffer 1
		.amdhsa_user_sgpr_dispatch_ptr 0
		.amdhsa_user_sgpr_queue_ptr 0
		.amdhsa_user_sgpr_kernarg_segment_ptr 1
		.amdhsa_user_sgpr_dispatch_id 0
		.amdhsa_user_sgpr_flat_scratch_init 0
		.amdhsa_user_sgpr_private_segment_size 0
		.amdhsa_uses_dynamic_stack 0
		.amdhsa_system_sgpr_private_segment_wavefront_offset 0
		.amdhsa_system_sgpr_workgroup_id_x 1
		.amdhsa_system_sgpr_workgroup_id_y 0
		.amdhsa_system_sgpr_workgroup_id_z 0
		.amdhsa_system_sgpr_workgroup_info 0
		.amdhsa_system_vgpr_workitem_id 0
		.amdhsa_next_free_vgpr 15
		.amdhsa_next_free_sgpr 17
		.amdhsa_reserve_vcc 1
		.amdhsa_reserve_flat_scratch 0
		.amdhsa_float_round_mode_32 0
		.amdhsa_float_round_mode_16_64 0
		.amdhsa_float_denorm_mode_32 3
		.amdhsa_float_denorm_mode_16_64 3
		.amdhsa_dx10_clamp 1
		.amdhsa_ieee_mode 1
		.amdhsa_fp16_overflow 0
		.amdhsa_exception_fp_ieee_invalid_op 0
		.amdhsa_exception_fp_denorm_src 0
		.amdhsa_exception_fp_ieee_div_zero 0
		.amdhsa_exception_fp_ieee_overflow 0
		.amdhsa_exception_fp_ieee_underflow 0
		.amdhsa_exception_fp_ieee_inexact 0
		.amdhsa_exception_int_div_zero 0
	.end_amdhsa_kernel
	.section	.text._Z6kernelI20flag_heads_and_tailsiLj256ELj4ELb0ELj100EEvPKT0_PS1_,"axG",@progbits,_Z6kernelI20flag_heads_and_tailsiLj256ELj4ELb0ELj100EEvPKT0_PS1_,comdat
.Lfunc_end83:
	.size	_Z6kernelI20flag_heads_and_tailsiLj256ELj4ELb0ELj100EEvPKT0_PS1_, .Lfunc_end83-_Z6kernelI20flag_heads_and_tailsiLj256ELj4ELb0ELj100EEvPKT0_PS1_
                                        ; -- End function
	.set _Z6kernelI20flag_heads_and_tailsiLj256ELj4ELb0ELj100EEvPKT0_PS1_.num_vgpr, 15
	.set _Z6kernelI20flag_heads_and_tailsiLj256ELj4ELb0ELj100EEvPKT0_PS1_.num_agpr, 0
	.set _Z6kernelI20flag_heads_and_tailsiLj256ELj4ELb0ELj100EEvPKT0_PS1_.numbered_sgpr, 17
	.set _Z6kernelI20flag_heads_and_tailsiLj256ELj4ELb0ELj100EEvPKT0_PS1_.num_named_barrier, 0
	.set _Z6kernelI20flag_heads_and_tailsiLj256ELj4ELb0ELj100EEvPKT0_PS1_.private_seg_size, 0
	.set _Z6kernelI20flag_heads_and_tailsiLj256ELj4ELb0ELj100EEvPKT0_PS1_.uses_vcc, 1
	.set _Z6kernelI20flag_heads_and_tailsiLj256ELj4ELb0ELj100EEvPKT0_PS1_.uses_flat_scratch, 0
	.set _Z6kernelI20flag_heads_and_tailsiLj256ELj4ELb0ELj100EEvPKT0_PS1_.has_dyn_sized_stack, 0
	.set _Z6kernelI20flag_heads_and_tailsiLj256ELj4ELb0ELj100EEvPKT0_PS1_.has_recursion, 0
	.set _Z6kernelI20flag_heads_and_tailsiLj256ELj4ELb0ELj100EEvPKT0_PS1_.has_indirect_call, 0
	.section	.AMDGPU.csdata,"",@progbits
; Kernel info:
; codeLenInByte = 432
; TotalNumSgprs: 21
; NumVgprs: 15
; ScratchSize: 0
; MemoryBound: 0
; FloatMode: 240
; IeeeMode: 1
; LDSByteSize: 2048 bytes/workgroup (compile time only)
; SGPRBlocks: 2
; VGPRBlocks: 3
; NumSGPRsForWavesPerEU: 21
; NumVGPRsForWavesPerEU: 15
; Occupancy: 10
; WaveLimiterHint : 1
; COMPUTE_PGM_RSRC2:SCRATCH_EN: 0
; COMPUTE_PGM_RSRC2:USER_SGPR: 6
; COMPUTE_PGM_RSRC2:TRAP_HANDLER: 0
; COMPUTE_PGM_RSRC2:TGID_X_EN: 1
; COMPUTE_PGM_RSRC2:TGID_Y_EN: 0
; COMPUTE_PGM_RSRC2:TGID_Z_EN: 0
; COMPUTE_PGM_RSRC2:TIDIG_COMP_CNT: 0
	.section	.text._Z6kernelI20flag_heads_and_tailsiLj256ELj8ELb0ELj100EEvPKT0_PS1_,"axG",@progbits,_Z6kernelI20flag_heads_and_tailsiLj256ELj8ELb0ELj100EEvPKT0_PS1_,comdat
	.protected	_Z6kernelI20flag_heads_and_tailsiLj256ELj8ELb0ELj100EEvPKT0_PS1_ ; -- Begin function _Z6kernelI20flag_heads_and_tailsiLj256ELj8ELb0ELj100EEvPKT0_PS1_
	.globl	_Z6kernelI20flag_heads_and_tailsiLj256ELj8ELb0ELj100EEvPKT0_PS1_
	.p2align	8
	.type	_Z6kernelI20flag_heads_and_tailsiLj256ELj8ELb0ELj100EEvPKT0_PS1_,@function
_Z6kernelI20flag_heads_and_tailsiLj256ELj8ELb0ELj100EEvPKT0_PS1_: ; @_Z6kernelI20flag_heads_and_tailsiLj256ELj8ELb0ELj100EEvPKT0_PS1_
; %bb.0:
	s_load_dwordx4 s[8:11], s[4:5], 0x0
	s_lshl_b32 s0, s6, 11
	s_mov_b32 s1, 0
	s_lshl_b64 s[6:7], s[0:1], 2
	v_lshlrev_b32_e32 v5, 2, v0
	s_waitcnt lgkmcnt(0)
	s_add_u32 s0, s8, s6
	s_addc_u32 s1, s9, s7
	v_mov_b32_e32 v1, s1
	v_add_co_u32_e32 v2, vcc, s0, v5
	v_addc_co_u32_e32 v1, vcc, 0, v1, vcc
	s_movk_i32 s2, 0x1000
	v_add_co_u32_e32 v10, vcc, s2, v2
	v_addc_co_u32_e32 v11, vcc, 0, v1, vcc
	global_load_dword v6, v5, s[0:1]
	global_load_dword v7, v5, s[0:1] offset:1024
	global_load_dword v8, v5, s[0:1] offset:2048
	;; [unrolled: 1-line block ×3, first 2 shown]
	global_load_dword v1, v[10:11], off
	global_load_dword v2, v[10:11], off offset:1024
	global_load_dword v3, v[10:11], off offset:2048
	;; [unrolled: 1-line block ×3, first 2 shown]
	s_movk_i32 s0, 0xff
	v_cmp_ne_u32_e32 vcc, 0, v0
	v_cmp_ne_u32_e64 s[0:1], s0, v0
	v_add_u32_e32 v10, -4, v5
	s_movk_i32 s8, 0x64
	s_branch .LBB84_2
.LBB84_1:                               ;   in Loop: Header=BB84_2 Depth=1
	s_or_b64 exec, exec, s[4:5]
	v_cmp_eq_u32_e64 s[2:3], v6, v7
	v_cndmask_b32_e64 v13, 0, 1, s[2:3]
	v_addc_co_u32_e64 v6, s[2:3], v12, v6, s[2:3]
	v_cmp_eq_u32_e64 s[2:3], v7, v8
	v_cndmask_b32_e64 v12, 0, 1, s[2:3]
	v_addc_co_u32_e64 v7, s[2:3], v7, v13, s[2:3]
	;; [unrolled: 3-line block ×6, first 2 shown]
	v_cmp_eq_u32_e64 s[2:3], v3, v4
	s_add_i32 s8, s8, -1
	v_addc_co_u32_e64 v3, s[4:5], v3, v12, s[2:3]
	v_addc_co_u32_e64 v4, s[2:3], v11, v4, s[2:3]
	s_cmp_lg_u32 s8, 0
	s_barrier
	s_cbranch_scc0 .LBB84_6
.LBB84_2:                               ; =>This Inner Loop Header: Depth=1
	v_mov_b32_e32 v11, 1
	v_mov_b32_e32 v12, 1
	s_waitcnt vmcnt(0)
	ds_write_b32 v5, v4
	s_waitcnt lgkmcnt(0)
	s_barrier
	s_and_saveexec_b64 s[4:5], vcc
	s_cbranch_execz .LBB84_4
; %bb.3:                                ;   in Loop: Header=BB84_2 Depth=1
	ds_read_b32 v12, v10
	s_waitcnt lgkmcnt(0)
	v_cmp_eq_u32_e64 s[2:3], v12, v6
	v_cndmask_b32_e64 v12, 0, 1, s[2:3]
.LBB84_4:                               ;   in Loop: Header=BB84_2 Depth=1
	s_or_b64 exec, exec, s[4:5]
	ds_write_b32 v5, v6 offset:1024
	s_waitcnt lgkmcnt(0)
	s_barrier
	s_and_saveexec_b64 s[4:5], s[0:1]
	s_cbranch_execz .LBB84_1
; %bb.5:                                ;   in Loop: Header=BB84_2 Depth=1
	ds_read_b32 v11, v5 offset:1028
	s_waitcnt lgkmcnt(0)
	v_cmp_eq_u32_e64 s[2:3], v4, v11
	v_cndmask_b32_e64 v11, 0, 1, s[2:3]
	s_branch .LBB84_1
.LBB84_6:
	s_add_u32 s0, s10, s6
	s_addc_u32 s1, s11, s7
	v_lshlrev_b32_e32 v0, 2, v0
	v_mov_b32_e32 v5, s1
	v_add_co_u32_e32 v10, vcc, s0, v0
	v_addc_co_u32_e32 v11, vcc, 0, v5, vcc
	v_add_co_u32_e32 v5, vcc, 0x1000, v10
	global_store_dword v0, v6, s[0:1]
	global_store_dword v0, v7, s[0:1] offset:1024
	global_store_dword v0, v8, s[0:1] offset:2048
	;; [unrolled: 1-line block ×3, first 2 shown]
	v_addc_co_u32_e32 v6, vcc, 0, v11, vcc
	global_store_dword v[5:6], v1, off
	global_store_dword v[5:6], v2, off offset:1024
	global_store_dword v[5:6], v3, off offset:2048
	;; [unrolled: 1-line block ×3, first 2 shown]
	s_endpgm
	.section	.rodata,"a",@progbits
	.p2align	6, 0x0
	.amdhsa_kernel _Z6kernelI20flag_heads_and_tailsiLj256ELj8ELb0ELj100EEvPKT0_PS1_
		.amdhsa_group_segment_fixed_size 2048
		.amdhsa_private_segment_fixed_size 0
		.amdhsa_kernarg_size 16
		.amdhsa_user_sgpr_count 6
		.amdhsa_user_sgpr_private_segment_buffer 1
		.amdhsa_user_sgpr_dispatch_ptr 0
		.amdhsa_user_sgpr_queue_ptr 0
		.amdhsa_user_sgpr_kernarg_segment_ptr 1
		.amdhsa_user_sgpr_dispatch_id 0
		.amdhsa_user_sgpr_flat_scratch_init 0
		.amdhsa_user_sgpr_private_segment_size 0
		.amdhsa_uses_dynamic_stack 0
		.amdhsa_system_sgpr_private_segment_wavefront_offset 0
		.amdhsa_system_sgpr_workgroup_id_x 1
		.amdhsa_system_sgpr_workgroup_id_y 0
		.amdhsa_system_sgpr_workgroup_id_z 0
		.amdhsa_system_sgpr_workgroup_info 0
		.amdhsa_system_vgpr_workitem_id 0
		.amdhsa_next_free_vgpr 14
		.amdhsa_next_free_sgpr 12
		.amdhsa_reserve_vcc 1
		.amdhsa_reserve_flat_scratch 0
		.amdhsa_float_round_mode_32 0
		.amdhsa_float_round_mode_16_64 0
		.amdhsa_float_denorm_mode_32 3
		.amdhsa_float_denorm_mode_16_64 3
		.amdhsa_dx10_clamp 1
		.amdhsa_ieee_mode 1
		.amdhsa_fp16_overflow 0
		.amdhsa_exception_fp_ieee_invalid_op 0
		.amdhsa_exception_fp_denorm_src 0
		.amdhsa_exception_fp_ieee_div_zero 0
		.amdhsa_exception_fp_ieee_overflow 0
		.amdhsa_exception_fp_ieee_underflow 0
		.amdhsa_exception_fp_ieee_inexact 0
		.amdhsa_exception_int_div_zero 0
	.end_amdhsa_kernel
	.section	.text._Z6kernelI20flag_heads_and_tailsiLj256ELj8ELb0ELj100EEvPKT0_PS1_,"axG",@progbits,_Z6kernelI20flag_heads_and_tailsiLj256ELj8ELb0ELj100EEvPKT0_PS1_,comdat
.Lfunc_end84:
	.size	_Z6kernelI20flag_heads_and_tailsiLj256ELj8ELb0ELj100EEvPKT0_PS1_, .Lfunc_end84-_Z6kernelI20flag_heads_and_tailsiLj256ELj8ELb0ELj100EEvPKT0_PS1_
                                        ; -- End function
	.set _Z6kernelI20flag_heads_and_tailsiLj256ELj8ELb0ELj100EEvPKT0_PS1_.num_vgpr, 14
	.set _Z6kernelI20flag_heads_and_tailsiLj256ELj8ELb0ELj100EEvPKT0_PS1_.num_agpr, 0
	.set _Z6kernelI20flag_heads_and_tailsiLj256ELj8ELb0ELj100EEvPKT0_PS1_.numbered_sgpr, 12
	.set _Z6kernelI20flag_heads_and_tailsiLj256ELj8ELb0ELj100EEvPKT0_PS1_.num_named_barrier, 0
	.set _Z6kernelI20flag_heads_and_tailsiLj256ELj8ELb0ELj100EEvPKT0_PS1_.private_seg_size, 0
	.set _Z6kernelI20flag_heads_and_tailsiLj256ELj8ELb0ELj100EEvPKT0_PS1_.uses_vcc, 1
	.set _Z6kernelI20flag_heads_and_tailsiLj256ELj8ELb0ELj100EEvPKT0_PS1_.uses_flat_scratch, 0
	.set _Z6kernelI20flag_heads_and_tailsiLj256ELj8ELb0ELj100EEvPKT0_PS1_.has_dyn_sized_stack, 0
	.set _Z6kernelI20flag_heads_and_tailsiLj256ELj8ELb0ELj100EEvPKT0_PS1_.has_recursion, 0
	.set _Z6kernelI20flag_heads_and_tailsiLj256ELj8ELb0ELj100EEvPKT0_PS1_.has_indirect_call, 0
	.section	.AMDGPU.csdata,"",@progbits
; Kernel info:
; codeLenInByte = 568
; TotalNumSgprs: 16
; NumVgprs: 14
; ScratchSize: 0
; MemoryBound: 0
; FloatMode: 240
; IeeeMode: 1
; LDSByteSize: 2048 bytes/workgroup (compile time only)
; SGPRBlocks: 1
; VGPRBlocks: 3
; NumSGPRsForWavesPerEU: 16
; NumVGPRsForWavesPerEU: 14
; Occupancy: 10
; WaveLimiterHint : 1
; COMPUTE_PGM_RSRC2:SCRATCH_EN: 0
; COMPUTE_PGM_RSRC2:USER_SGPR: 6
; COMPUTE_PGM_RSRC2:TRAP_HANDLER: 0
; COMPUTE_PGM_RSRC2:TGID_X_EN: 1
; COMPUTE_PGM_RSRC2:TGID_Y_EN: 0
; COMPUTE_PGM_RSRC2:TGID_Z_EN: 0
; COMPUTE_PGM_RSRC2:TIDIG_COMP_CNT: 0
	.section	.text._Z6kernelI20flag_heads_and_tailsiLj256ELj1ELb1ELj100EEvPKT0_PS1_,"axG",@progbits,_Z6kernelI20flag_heads_and_tailsiLj256ELj1ELb1ELj100EEvPKT0_PS1_,comdat
	.protected	_Z6kernelI20flag_heads_and_tailsiLj256ELj1ELb1ELj100EEvPKT0_PS1_ ; -- Begin function _Z6kernelI20flag_heads_and_tailsiLj256ELj1ELb1ELj100EEvPKT0_PS1_
	.globl	_Z6kernelI20flag_heads_and_tailsiLj256ELj1ELb1ELj100EEvPKT0_PS1_
	.p2align	8
	.type	_Z6kernelI20flag_heads_and_tailsiLj256ELj1ELb1ELj100EEvPKT0_PS1_,@function
_Z6kernelI20flag_heads_and_tailsiLj256ELj1ELb1ELj100EEvPKT0_PS1_: ; @_Z6kernelI20flag_heads_and_tailsiLj256ELj1ELb1ELj100EEvPKT0_PS1_
; %bb.0:
	s_load_dwordx4 s[8:11], s[4:5], 0x0
	s_lshl_b32 s0, s6, 8
	s_mov_b32 s1, 0
	s_lshl_b64 s[4:5], s[0:1], 2
	v_lshlrev_b32_e32 v2, 2, v0
	s_waitcnt lgkmcnt(0)
	s_add_u32 s0, s8, s4
	s_addc_u32 s1, s9, s5
	global_load_dword v1, v2, s[0:1]
	s_movk_i32 s0, 0xff
	v_cmp_ne_u32_e32 vcc, 0, v0
	v_cmp_ne_u32_e64 s[0:1], s0, v0
	v_add_u32_e32 v3, -4, v2
	s_movk_i32 s6, 0x64
	s_branch .LBB85_2
.LBB85_1:                               ;   in Loop: Header=BB85_2 Depth=1
	s_or_b64 exec, exec, s[2:3]
	v_cmp_eq_u32_e64 s[2:3], v4, v1
	v_cndmask_b32_e64 v4, 0, 1, s[2:3]
	s_waitcnt lgkmcnt(0)
	v_cmp_eq_u32_e64 s[2:3], v1, v5
	s_add_i32 s6, s6, -1
	v_addc_co_u32_e64 v1, s[2:3], v1, v4, s[2:3]
	s_cmp_lg_u32 s6, 0
	s_barrier
	s_cbranch_scc0 .LBB85_6
.LBB85_2:                               ; =>This Inner Loop Header: Depth=1
	v_mov_b32_e32 v4, 0x7b
	s_waitcnt vmcnt(0)
	ds_write_b32 v2, v1
	s_waitcnt lgkmcnt(0)
	s_barrier
	s_and_saveexec_b64 s[2:3], vcc
; %bb.3:                                ;   in Loop: Header=BB85_2 Depth=1
	ds_read_b32 v4, v3
; %bb.4:                                ;   in Loop: Header=BB85_2 Depth=1
	s_or_b64 exec, exec, s[2:3]
	v_mov_b32_e32 v5, 0xea
	ds_write_b32 v2, v1 offset:1024
	s_waitcnt lgkmcnt(0)
	s_barrier
	s_and_saveexec_b64 s[2:3], s[0:1]
	s_cbranch_execz .LBB85_1
; %bb.5:                                ;   in Loop: Header=BB85_2 Depth=1
	ds_read_b32 v5, v2 offset:1028
	s_branch .LBB85_1
.LBB85_6:
	s_add_u32 s0, s10, s4
	s_addc_u32 s1, s11, s5
	v_lshlrev_b32_e32 v0, 2, v0
	global_store_dword v0, v1, s[0:1]
	s_endpgm
	.section	.rodata,"a",@progbits
	.p2align	6, 0x0
	.amdhsa_kernel _Z6kernelI20flag_heads_and_tailsiLj256ELj1ELb1ELj100EEvPKT0_PS1_
		.amdhsa_group_segment_fixed_size 2048
		.amdhsa_private_segment_fixed_size 0
		.amdhsa_kernarg_size 16
		.amdhsa_user_sgpr_count 6
		.amdhsa_user_sgpr_private_segment_buffer 1
		.amdhsa_user_sgpr_dispatch_ptr 0
		.amdhsa_user_sgpr_queue_ptr 0
		.amdhsa_user_sgpr_kernarg_segment_ptr 1
		.amdhsa_user_sgpr_dispatch_id 0
		.amdhsa_user_sgpr_flat_scratch_init 0
		.amdhsa_user_sgpr_private_segment_size 0
		.amdhsa_uses_dynamic_stack 0
		.amdhsa_system_sgpr_private_segment_wavefront_offset 0
		.amdhsa_system_sgpr_workgroup_id_x 1
		.amdhsa_system_sgpr_workgroup_id_y 0
		.amdhsa_system_sgpr_workgroup_id_z 0
		.amdhsa_system_sgpr_workgroup_info 0
		.amdhsa_system_vgpr_workitem_id 0
		.amdhsa_next_free_vgpr 6
		.amdhsa_next_free_sgpr 12
		.amdhsa_reserve_vcc 1
		.amdhsa_reserve_flat_scratch 0
		.amdhsa_float_round_mode_32 0
		.amdhsa_float_round_mode_16_64 0
		.amdhsa_float_denorm_mode_32 3
		.amdhsa_float_denorm_mode_16_64 3
		.amdhsa_dx10_clamp 1
		.amdhsa_ieee_mode 1
		.amdhsa_fp16_overflow 0
		.amdhsa_exception_fp_ieee_invalid_op 0
		.amdhsa_exception_fp_denorm_src 0
		.amdhsa_exception_fp_ieee_div_zero 0
		.amdhsa_exception_fp_ieee_overflow 0
		.amdhsa_exception_fp_ieee_underflow 0
		.amdhsa_exception_fp_ieee_inexact 0
		.amdhsa_exception_int_div_zero 0
	.end_amdhsa_kernel
	.section	.text._Z6kernelI20flag_heads_and_tailsiLj256ELj1ELb1ELj100EEvPKT0_PS1_,"axG",@progbits,_Z6kernelI20flag_heads_and_tailsiLj256ELj1ELb1ELj100EEvPKT0_PS1_,comdat
.Lfunc_end85:
	.size	_Z6kernelI20flag_heads_and_tailsiLj256ELj1ELb1ELj100EEvPKT0_PS1_, .Lfunc_end85-_Z6kernelI20flag_heads_and_tailsiLj256ELj1ELb1ELj100EEvPKT0_PS1_
                                        ; -- End function
	.set _Z6kernelI20flag_heads_and_tailsiLj256ELj1ELb1ELj100EEvPKT0_PS1_.num_vgpr, 6
	.set _Z6kernelI20flag_heads_and_tailsiLj256ELj1ELb1ELj100EEvPKT0_PS1_.num_agpr, 0
	.set _Z6kernelI20flag_heads_and_tailsiLj256ELj1ELb1ELj100EEvPKT0_PS1_.numbered_sgpr, 12
	.set _Z6kernelI20flag_heads_and_tailsiLj256ELj1ELb1ELj100EEvPKT0_PS1_.num_named_barrier, 0
	.set _Z6kernelI20flag_heads_and_tailsiLj256ELj1ELb1ELj100EEvPKT0_PS1_.private_seg_size, 0
	.set _Z6kernelI20flag_heads_and_tailsiLj256ELj1ELb1ELj100EEvPKT0_PS1_.uses_vcc, 1
	.set _Z6kernelI20flag_heads_and_tailsiLj256ELj1ELb1ELj100EEvPKT0_PS1_.uses_flat_scratch, 0
	.set _Z6kernelI20flag_heads_and_tailsiLj256ELj1ELb1ELj100EEvPKT0_PS1_.has_dyn_sized_stack, 0
	.set _Z6kernelI20flag_heads_and_tailsiLj256ELj1ELb1ELj100EEvPKT0_PS1_.has_recursion, 0
	.set _Z6kernelI20flag_heads_and_tailsiLj256ELj1ELb1ELj100EEvPKT0_PS1_.has_indirect_call, 0
	.section	.AMDGPU.csdata,"",@progbits
; Kernel info:
; codeLenInByte = 240
; TotalNumSgprs: 16
; NumVgprs: 6
; ScratchSize: 0
; MemoryBound: 0
; FloatMode: 240
; IeeeMode: 1
; LDSByteSize: 2048 bytes/workgroup (compile time only)
; SGPRBlocks: 1
; VGPRBlocks: 1
; NumSGPRsForWavesPerEU: 16
; NumVGPRsForWavesPerEU: 6
; Occupancy: 10
; WaveLimiterHint : 0
; COMPUTE_PGM_RSRC2:SCRATCH_EN: 0
; COMPUTE_PGM_RSRC2:USER_SGPR: 6
; COMPUTE_PGM_RSRC2:TRAP_HANDLER: 0
; COMPUTE_PGM_RSRC2:TGID_X_EN: 1
; COMPUTE_PGM_RSRC2:TGID_Y_EN: 0
; COMPUTE_PGM_RSRC2:TGID_Z_EN: 0
; COMPUTE_PGM_RSRC2:TIDIG_COMP_CNT: 0
	.section	.text._Z6kernelI20flag_heads_and_tailsiLj256ELj2ELb1ELj100EEvPKT0_PS1_,"axG",@progbits,_Z6kernelI20flag_heads_and_tailsiLj256ELj2ELb1ELj100EEvPKT0_PS1_,comdat
	.protected	_Z6kernelI20flag_heads_and_tailsiLj256ELj2ELb1ELj100EEvPKT0_PS1_ ; -- Begin function _Z6kernelI20flag_heads_and_tailsiLj256ELj2ELb1ELj100EEvPKT0_PS1_
	.globl	_Z6kernelI20flag_heads_and_tailsiLj256ELj2ELb1ELj100EEvPKT0_PS1_
	.p2align	8
	.type	_Z6kernelI20flag_heads_and_tailsiLj256ELj2ELb1ELj100EEvPKT0_PS1_,@function
_Z6kernelI20flag_heads_and_tailsiLj256ELj2ELb1ELj100EEvPKT0_PS1_: ; @_Z6kernelI20flag_heads_and_tailsiLj256ELj2ELb1ELj100EEvPKT0_PS1_
; %bb.0:
	s_load_dwordx4 s[8:11], s[4:5], 0x0
	s_lshl_b32 s0, s6, 9
	s_mov_b32 s1, 0
	s_lshl_b64 s[4:5], s[0:1], 2
	v_lshlrev_b32_e32 v3, 2, v0
	s_waitcnt lgkmcnt(0)
	s_add_u32 s0, s8, s4
	s_addc_u32 s1, s9, s5
	global_load_dword v1, v3, s[0:1]
	global_load_dword v2, v3, s[0:1] offset:1024
	s_movk_i32 s0, 0xff
	v_cmp_ne_u32_e32 vcc, 0, v0
	v_cmp_ne_u32_e64 s[0:1], s0, v0
	v_add_u32_e32 v4, -4, v3
	s_movk_i32 s6, 0x64
	s_branch .LBB86_2
.LBB86_1:                               ;   in Loop: Header=BB86_2 Depth=1
	s_or_b64 exec, exec, s[2:3]
	v_cmp_eq_u32_e64 s[2:3], v1, v2
	v_cndmask_b32_e64 v7, 0, 1, s[2:3]
	v_cmp_eq_u32_e64 s[2:3], v5, v1
	v_addc_co_u32_e64 v1, s[2:3], v1, v7, s[2:3]
	s_waitcnt lgkmcnt(0)
	v_cmp_eq_u32_e64 s[2:3], v2, v6
	s_add_i32 s6, s6, -1
	v_addc_co_u32_e64 v2, s[2:3], v2, v7, s[2:3]
	s_cmp_lg_u32 s6, 0
	s_barrier
	s_cbranch_scc0 .LBB86_6
.LBB86_2:                               ; =>This Inner Loop Header: Depth=1
	v_mov_b32_e32 v5, 0x7b
	s_waitcnt vmcnt(0)
	ds_write_b32 v3, v2
	s_waitcnt lgkmcnt(0)
	s_barrier
	s_and_saveexec_b64 s[2:3], vcc
; %bb.3:                                ;   in Loop: Header=BB86_2 Depth=1
	ds_read_b32 v5, v4
; %bb.4:                                ;   in Loop: Header=BB86_2 Depth=1
	s_or_b64 exec, exec, s[2:3]
	v_mov_b32_e32 v6, 0xea
	ds_write_b32 v3, v1 offset:1024
	s_waitcnt lgkmcnt(0)
	s_barrier
	s_and_saveexec_b64 s[2:3], s[0:1]
	s_cbranch_execz .LBB86_1
; %bb.5:                                ;   in Loop: Header=BB86_2 Depth=1
	ds_read_b32 v6, v3 offset:1028
	s_branch .LBB86_1
.LBB86_6:
	s_add_u32 s0, s10, s4
	s_addc_u32 s1, s11, s5
	v_lshlrev_b32_e32 v0, 2, v0
	global_store_dword v0, v1, s[0:1]
	global_store_dword v0, v2, s[0:1] offset:1024
	s_endpgm
	.section	.rodata,"a",@progbits
	.p2align	6, 0x0
	.amdhsa_kernel _Z6kernelI20flag_heads_and_tailsiLj256ELj2ELb1ELj100EEvPKT0_PS1_
		.amdhsa_group_segment_fixed_size 2048
		.amdhsa_private_segment_fixed_size 0
		.amdhsa_kernarg_size 16
		.amdhsa_user_sgpr_count 6
		.amdhsa_user_sgpr_private_segment_buffer 1
		.amdhsa_user_sgpr_dispatch_ptr 0
		.amdhsa_user_sgpr_queue_ptr 0
		.amdhsa_user_sgpr_kernarg_segment_ptr 1
		.amdhsa_user_sgpr_dispatch_id 0
		.amdhsa_user_sgpr_flat_scratch_init 0
		.amdhsa_user_sgpr_private_segment_size 0
		.amdhsa_uses_dynamic_stack 0
		.amdhsa_system_sgpr_private_segment_wavefront_offset 0
		.amdhsa_system_sgpr_workgroup_id_x 1
		.amdhsa_system_sgpr_workgroup_id_y 0
		.amdhsa_system_sgpr_workgroup_id_z 0
		.amdhsa_system_sgpr_workgroup_info 0
		.amdhsa_system_vgpr_workitem_id 0
		.amdhsa_next_free_vgpr 8
		.amdhsa_next_free_sgpr 12
		.amdhsa_reserve_vcc 1
		.amdhsa_reserve_flat_scratch 0
		.amdhsa_float_round_mode_32 0
		.amdhsa_float_round_mode_16_64 0
		.amdhsa_float_denorm_mode_32 3
		.amdhsa_float_denorm_mode_16_64 3
		.amdhsa_dx10_clamp 1
		.amdhsa_ieee_mode 1
		.amdhsa_fp16_overflow 0
		.amdhsa_exception_fp_ieee_invalid_op 0
		.amdhsa_exception_fp_denorm_src 0
		.amdhsa_exception_fp_ieee_div_zero 0
		.amdhsa_exception_fp_ieee_overflow 0
		.amdhsa_exception_fp_ieee_underflow 0
		.amdhsa_exception_fp_ieee_inexact 0
		.amdhsa_exception_int_div_zero 0
	.end_amdhsa_kernel
	.section	.text._Z6kernelI20flag_heads_and_tailsiLj256ELj2ELb1ELj100EEvPKT0_PS1_,"axG",@progbits,_Z6kernelI20flag_heads_and_tailsiLj256ELj2ELb1ELj100EEvPKT0_PS1_,comdat
.Lfunc_end86:
	.size	_Z6kernelI20flag_heads_and_tailsiLj256ELj2ELb1ELj100EEvPKT0_PS1_, .Lfunc_end86-_Z6kernelI20flag_heads_and_tailsiLj256ELj2ELb1ELj100EEvPKT0_PS1_
                                        ; -- End function
	.set _Z6kernelI20flag_heads_and_tailsiLj256ELj2ELb1ELj100EEvPKT0_PS1_.num_vgpr, 8
	.set _Z6kernelI20flag_heads_and_tailsiLj256ELj2ELb1ELj100EEvPKT0_PS1_.num_agpr, 0
	.set _Z6kernelI20flag_heads_and_tailsiLj256ELj2ELb1ELj100EEvPKT0_PS1_.numbered_sgpr, 12
	.set _Z6kernelI20flag_heads_and_tailsiLj256ELj2ELb1ELj100EEvPKT0_PS1_.num_named_barrier, 0
	.set _Z6kernelI20flag_heads_and_tailsiLj256ELj2ELb1ELj100EEvPKT0_PS1_.private_seg_size, 0
	.set _Z6kernelI20flag_heads_and_tailsiLj256ELj2ELb1ELj100EEvPKT0_PS1_.uses_vcc, 1
	.set _Z6kernelI20flag_heads_and_tailsiLj256ELj2ELb1ELj100EEvPKT0_PS1_.uses_flat_scratch, 0
	.set _Z6kernelI20flag_heads_and_tailsiLj256ELj2ELb1ELj100EEvPKT0_PS1_.has_dyn_sized_stack, 0
	.set _Z6kernelI20flag_heads_and_tailsiLj256ELj2ELb1ELj100EEvPKT0_PS1_.has_recursion, 0
	.set _Z6kernelI20flag_heads_and_tailsiLj256ELj2ELb1ELj100EEvPKT0_PS1_.has_indirect_call, 0
	.section	.AMDGPU.csdata,"",@progbits
; Kernel info:
; codeLenInByte = 272
; TotalNumSgprs: 16
; NumVgprs: 8
; ScratchSize: 0
; MemoryBound: 0
; FloatMode: 240
; IeeeMode: 1
; LDSByteSize: 2048 bytes/workgroup (compile time only)
; SGPRBlocks: 1
; VGPRBlocks: 1
; NumSGPRsForWavesPerEU: 16
; NumVGPRsForWavesPerEU: 8
; Occupancy: 10
; WaveLimiterHint : 1
; COMPUTE_PGM_RSRC2:SCRATCH_EN: 0
; COMPUTE_PGM_RSRC2:USER_SGPR: 6
; COMPUTE_PGM_RSRC2:TRAP_HANDLER: 0
; COMPUTE_PGM_RSRC2:TGID_X_EN: 1
; COMPUTE_PGM_RSRC2:TGID_Y_EN: 0
; COMPUTE_PGM_RSRC2:TGID_Z_EN: 0
; COMPUTE_PGM_RSRC2:TIDIG_COMP_CNT: 0
	.section	.text._Z6kernelI20flag_heads_and_tailsiLj256ELj3ELb1ELj100EEvPKT0_PS1_,"axG",@progbits,_Z6kernelI20flag_heads_and_tailsiLj256ELj3ELb1ELj100EEvPKT0_PS1_,comdat
	.protected	_Z6kernelI20flag_heads_and_tailsiLj256ELj3ELb1ELj100EEvPKT0_PS1_ ; -- Begin function _Z6kernelI20flag_heads_and_tailsiLj256ELj3ELb1ELj100EEvPKT0_PS1_
	.globl	_Z6kernelI20flag_heads_and_tailsiLj256ELj3ELb1ELj100EEvPKT0_PS1_
	.p2align	8
	.type	_Z6kernelI20flag_heads_and_tailsiLj256ELj3ELb1ELj100EEvPKT0_PS1_,@function
_Z6kernelI20flag_heads_and_tailsiLj256ELj3ELb1ELj100EEvPKT0_PS1_: ; @_Z6kernelI20flag_heads_and_tailsiLj256ELj3ELb1ELj100EEvPKT0_PS1_
; %bb.0:
	s_load_dwordx4 s[8:11], s[4:5], 0x0
	s_mul_i32 s0, s6, 0x300
	s_mov_b32 s1, 0
	s_lshl_b64 s[4:5], s[0:1], 2
	v_lshlrev_b32_e32 v4, 2, v0
	s_waitcnt lgkmcnt(0)
	s_add_u32 s0, s8, s4
	s_addc_u32 s1, s9, s5
	global_load_dword v1, v4, s[0:1]
	global_load_dword v2, v4, s[0:1] offset:1024
	global_load_dword v3, v4, s[0:1] offset:2048
	s_movk_i32 s0, 0xff
	v_cmp_ne_u32_e32 vcc, 0, v0
	v_cmp_ne_u32_e64 s[0:1], s0, v0
	v_add_u32_e32 v5, -4, v4
	s_movk_i32 s6, 0x64
	s_branch .LBB87_2
.LBB87_1:                               ;   in Loop: Header=BB87_2 Depth=1
	s_or_b64 exec, exec, s[2:3]
	v_cmp_eq_u32_e64 s[2:3], v1, v2
	v_cndmask_b32_e64 v8, 0, 1, s[2:3]
	v_cmp_eq_u32_e64 s[2:3], v6, v1
	v_addc_co_u32_e64 v1, s[2:3], v1, v8, s[2:3]
	v_cmp_eq_u32_e64 s[2:3], v2, v3
	v_cndmask_b32_e64 v6, 0, 1, s[2:3]
	v_addc_co_u32_e64 v2, s[2:3], v2, v8, s[2:3]
	s_waitcnt lgkmcnt(0)
	v_cmp_eq_u32_e64 s[2:3], v3, v7
	s_add_i32 s6, s6, -1
	v_addc_co_u32_e64 v3, s[2:3], v3, v6, s[2:3]
	s_cmp_lg_u32 s6, 0
	s_barrier
	s_cbranch_scc0 .LBB87_6
.LBB87_2:                               ; =>This Inner Loop Header: Depth=1
	v_mov_b32_e32 v6, 0x7b
	s_waitcnt vmcnt(0)
	ds_write_b32 v4, v3
	s_waitcnt lgkmcnt(0)
	s_barrier
	s_and_saveexec_b64 s[2:3], vcc
; %bb.3:                                ;   in Loop: Header=BB87_2 Depth=1
	ds_read_b32 v6, v5
; %bb.4:                                ;   in Loop: Header=BB87_2 Depth=1
	s_or_b64 exec, exec, s[2:3]
	v_mov_b32_e32 v7, 0xea
	ds_write_b32 v4, v1 offset:1024
	s_waitcnt lgkmcnt(0)
	s_barrier
	s_and_saveexec_b64 s[2:3], s[0:1]
	s_cbranch_execz .LBB87_1
; %bb.5:                                ;   in Loop: Header=BB87_2 Depth=1
	ds_read_b32 v7, v4 offset:1028
	s_branch .LBB87_1
.LBB87_6:
	s_add_u32 s0, s10, s4
	s_addc_u32 s1, s11, s5
	v_lshlrev_b32_e32 v0, 2, v0
	global_store_dword v0, v1, s[0:1]
	global_store_dword v0, v2, s[0:1] offset:1024
	global_store_dword v0, v3, s[0:1] offset:2048
	s_endpgm
	.section	.rodata,"a",@progbits
	.p2align	6, 0x0
	.amdhsa_kernel _Z6kernelI20flag_heads_and_tailsiLj256ELj3ELb1ELj100EEvPKT0_PS1_
		.amdhsa_group_segment_fixed_size 2048
		.amdhsa_private_segment_fixed_size 0
		.amdhsa_kernarg_size 16
		.amdhsa_user_sgpr_count 6
		.amdhsa_user_sgpr_private_segment_buffer 1
		.amdhsa_user_sgpr_dispatch_ptr 0
		.amdhsa_user_sgpr_queue_ptr 0
		.amdhsa_user_sgpr_kernarg_segment_ptr 1
		.amdhsa_user_sgpr_dispatch_id 0
		.amdhsa_user_sgpr_flat_scratch_init 0
		.amdhsa_user_sgpr_private_segment_size 0
		.amdhsa_uses_dynamic_stack 0
		.amdhsa_system_sgpr_private_segment_wavefront_offset 0
		.amdhsa_system_sgpr_workgroup_id_x 1
		.amdhsa_system_sgpr_workgroup_id_y 0
		.amdhsa_system_sgpr_workgroup_id_z 0
		.amdhsa_system_sgpr_workgroup_info 0
		.amdhsa_system_vgpr_workitem_id 0
		.amdhsa_next_free_vgpr 9
		.amdhsa_next_free_sgpr 12
		.amdhsa_reserve_vcc 1
		.amdhsa_reserve_flat_scratch 0
		.amdhsa_float_round_mode_32 0
		.amdhsa_float_round_mode_16_64 0
		.amdhsa_float_denorm_mode_32 3
		.amdhsa_float_denorm_mode_16_64 3
		.amdhsa_dx10_clamp 1
		.amdhsa_ieee_mode 1
		.amdhsa_fp16_overflow 0
		.amdhsa_exception_fp_ieee_invalid_op 0
		.amdhsa_exception_fp_denorm_src 0
		.amdhsa_exception_fp_ieee_div_zero 0
		.amdhsa_exception_fp_ieee_overflow 0
		.amdhsa_exception_fp_ieee_underflow 0
		.amdhsa_exception_fp_ieee_inexact 0
		.amdhsa_exception_int_div_zero 0
	.end_amdhsa_kernel
	.section	.text._Z6kernelI20flag_heads_and_tailsiLj256ELj3ELb1ELj100EEvPKT0_PS1_,"axG",@progbits,_Z6kernelI20flag_heads_and_tailsiLj256ELj3ELb1ELj100EEvPKT0_PS1_,comdat
.Lfunc_end87:
	.size	_Z6kernelI20flag_heads_and_tailsiLj256ELj3ELb1ELj100EEvPKT0_PS1_, .Lfunc_end87-_Z6kernelI20flag_heads_and_tailsiLj256ELj3ELb1ELj100EEvPKT0_PS1_
                                        ; -- End function
	.set _Z6kernelI20flag_heads_and_tailsiLj256ELj3ELb1ELj100EEvPKT0_PS1_.num_vgpr, 9
	.set _Z6kernelI20flag_heads_and_tailsiLj256ELj3ELb1ELj100EEvPKT0_PS1_.num_agpr, 0
	.set _Z6kernelI20flag_heads_and_tailsiLj256ELj3ELb1ELj100EEvPKT0_PS1_.numbered_sgpr, 12
	.set _Z6kernelI20flag_heads_and_tailsiLj256ELj3ELb1ELj100EEvPKT0_PS1_.num_named_barrier, 0
	.set _Z6kernelI20flag_heads_and_tailsiLj256ELj3ELb1ELj100EEvPKT0_PS1_.private_seg_size, 0
	.set _Z6kernelI20flag_heads_and_tailsiLj256ELj3ELb1ELj100EEvPKT0_PS1_.uses_vcc, 1
	.set _Z6kernelI20flag_heads_and_tailsiLj256ELj3ELb1ELj100EEvPKT0_PS1_.uses_flat_scratch, 0
	.set _Z6kernelI20flag_heads_and_tailsiLj256ELj3ELb1ELj100EEvPKT0_PS1_.has_dyn_sized_stack, 0
	.set _Z6kernelI20flag_heads_and_tailsiLj256ELj3ELb1ELj100EEvPKT0_PS1_.has_recursion, 0
	.set _Z6kernelI20flag_heads_and_tailsiLj256ELj3ELb1ELj100EEvPKT0_PS1_.has_indirect_call, 0
	.section	.AMDGPU.csdata,"",@progbits
; Kernel info:
; codeLenInByte = 316
; TotalNumSgprs: 16
; NumVgprs: 9
; ScratchSize: 0
; MemoryBound: 0
; FloatMode: 240
; IeeeMode: 1
; LDSByteSize: 2048 bytes/workgroup (compile time only)
; SGPRBlocks: 1
; VGPRBlocks: 2
; NumSGPRsForWavesPerEU: 16
; NumVGPRsForWavesPerEU: 9
; Occupancy: 10
; WaveLimiterHint : 1
; COMPUTE_PGM_RSRC2:SCRATCH_EN: 0
; COMPUTE_PGM_RSRC2:USER_SGPR: 6
; COMPUTE_PGM_RSRC2:TRAP_HANDLER: 0
; COMPUTE_PGM_RSRC2:TGID_X_EN: 1
; COMPUTE_PGM_RSRC2:TGID_Y_EN: 0
; COMPUTE_PGM_RSRC2:TGID_Z_EN: 0
; COMPUTE_PGM_RSRC2:TIDIG_COMP_CNT: 0
	.section	.text._Z6kernelI20flag_heads_and_tailsiLj256ELj4ELb1ELj100EEvPKT0_PS1_,"axG",@progbits,_Z6kernelI20flag_heads_and_tailsiLj256ELj4ELb1ELj100EEvPKT0_PS1_,comdat
	.protected	_Z6kernelI20flag_heads_and_tailsiLj256ELj4ELb1ELj100EEvPKT0_PS1_ ; -- Begin function _Z6kernelI20flag_heads_and_tailsiLj256ELj4ELb1ELj100EEvPKT0_PS1_
	.globl	_Z6kernelI20flag_heads_and_tailsiLj256ELj4ELb1ELj100EEvPKT0_PS1_
	.p2align	8
	.type	_Z6kernelI20flag_heads_and_tailsiLj256ELj4ELb1ELj100EEvPKT0_PS1_,@function
_Z6kernelI20flag_heads_and_tailsiLj256ELj4ELb1ELj100EEvPKT0_PS1_: ; @_Z6kernelI20flag_heads_and_tailsiLj256ELj4ELb1ELj100EEvPKT0_PS1_
; %bb.0:
	s_load_dwordx4 s[8:11], s[4:5], 0x0
	s_lshl_b32 s0, s6, 10
	s_mov_b32 s1, 0
	s_lshl_b64 s[4:5], s[0:1], 2
	v_lshlrev_b32_e32 v5, 2, v0
	s_waitcnt lgkmcnt(0)
	s_add_u32 s0, s8, s4
	s_addc_u32 s1, s9, s5
	global_load_dword v1, v5, s[0:1]
	global_load_dword v2, v5, s[0:1] offset:1024
	global_load_dword v3, v5, s[0:1] offset:2048
	;; [unrolled: 1-line block ×3, first 2 shown]
	s_movk_i32 s0, 0xff
	v_cmp_ne_u32_e32 vcc, 0, v0
	v_cmp_ne_u32_e64 s[0:1], s0, v0
	v_add_u32_e32 v6, -4, v5
	s_movk_i32 s6, 0x64
	s_branch .LBB88_2
.LBB88_1:                               ;   in Loop: Header=BB88_2 Depth=1
	s_or_b64 exec, exec, s[2:3]
	v_cmp_eq_u32_e64 s[2:3], v1, v2
	v_cndmask_b32_e64 v9, 0, 1, s[2:3]
	v_cmp_eq_u32_e64 s[2:3], v7, v1
	v_addc_co_u32_e64 v1, s[2:3], v1, v9, s[2:3]
	v_cmp_eq_u32_e64 s[2:3], v2, v3
	v_cndmask_b32_e64 v7, 0, 1, s[2:3]
	v_addc_co_u32_e64 v2, s[2:3], v2, v9, s[2:3]
	v_cmp_eq_u32_e64 s[2:3], v3, v4
	v_cndmask_b32_e64 v9, 0, 1, s[2:3]
	v_addc_co_u32_e64 v3, s[2:3], v3, v7, s[2:3]
	s_waitcnt lgkmcnt(0)
	v_cmp_eq_u32_e64 s[2:3], v4, v8
	s_add_i32 s6, s6, -1
	v_addc_co_u32_e64 v4, s[2:3], v4, v9, s[2:3]
	s_cmp_lg_u32 s6, 0
	s_barrier
	s_cbranch_scc0 .LBB88_6
.LBB88_2:                               ; =>This Inner Loop Header: Depth=1
	v_mov_b32_e32 v7, 0x7b
	s_waitcnt vmcnt(0)
	ds_write_b32 v5, v4
	s_waitcnt lgkmcnt(0)
	s_barrier
	s_and_saveexec_b64 s[2:3], vcc
; %bb.3:                                ;   in Loop: Header=BB88_2 Depth=1
	ds_read_b32 v7, v6
; %bb.4:                                ;   in Loop: Header=BB88_2 Depth=1
	s_or_b64 exec, exec, s[2:3]
	v_mov_b32_e32 v8, 0xea
	ds_write_b32 v5, v1 offset:1024
	s_waitcnt lgkmcnt(0)
	s_barrier
	s_and_saveexec_b64 s[2:3], s[0:1]
	s_cbranch_execz .LBB88_1
; %bb.5:                                ;   in Loop: Header=BB88_2 Depth=1
	ds_read_b32 v8, v5 offset:1028
	s_branch .LBB88_1
.LBB88_6:
	s_add_u32 s0, s10, s4
	s_addc_u32 s1, s11, s5
	v_lshlrev_b32_e32 v0, 2, v0
	global_store_dword v0, v1, s[0:1]
	global_store_dword v0, v2, s[0:1] offset:1024
	global_store_dword v0, v3, s[0:1] offset:2048
	global_store_dword v0, v4, s[0:1] offset:3072
	s_endpgm
	.section	.rodata,"a",@progbits
	.p2align	6, 0x0
	.amdhsa_kernel _Z6kernelI20flag_heads_and_tailsiLj256ELj4ELb1ELj100EEvPKT0_PS1_
		.amdhsa_group_segment_fixed_size 2048
		.amdhsa_private_segment_fixed_size 0
		.amdhsa_kernarg_size 16
		.amdhsa_user_sgpr_count 6
		.amdhsa_user_sgpr_private_segment_buffer 1
		.amdhsa_user_sgpr_dispatch_ptr 0
		.amdhsa_user_sgpr_queue_ptr 0
		.amdhsa_user_sgpr_kernarg_segment_ptr 1
		.amdhsa_user_sgpr_dispatch_id 0
		.amdhsa_user_sgpr_flat_scratch_init 0
		.amdhsa_user_sgpr_private_segment_size 0
		.amdhsa_uses_dynamic_stack 0
		.amdhsa_system_sgpr_private_segment_wavefront_offset 0
		.amdhsa_system_sgpr_workgroup_id_x 1
		.amdhsa_system_sgpr_workgroup_id_y 0
		.amdhsa_system_sgpr_workgroup_id_z 0
		.amdhsa_system_sgpr_workgroup_info 0
		.amdhsa_system_vgpr_workitem_id 0
		.amdhsa_next_free_vgpr 10
		.amdhsa_next_free_sgpr 12
		.amdhsa_reserve_vcc 1
		.amdhsa_reserve_flat_scratch 0
		.amdhsa_float_round_mode_32 0
		.amdhsa_float_round_mode_16_64 0
		.amdhsa_float_denorm_mode_32 3
		.amdhsa_float_denorm_mode_16_64 3
		.amdhsa_dx10_clamp 1
		.amdhsa_ieee_mode 1
		.amdhsa_fp16_overflow 0
		.amdhsa_exception_fp_ieee_invalid_op 0
		.amdhsa_exception_fp_denorm_src 0
		.amdhsa_exception_fp_ieee_div_zero 0
		.amdhsa_exception_fp_ieee_overflow 0
		.amdhsa_exception_fp_ieee_underflow 0
		.amdhsa_exception_fp_ieee_inexact 0
		.amdhsa_exception_int_div_zero 0
	.end_amdhsa_kernel
	.section	.text._Z6kernelI20flag_heads_and_tailsiLj256ELj4ELb1ELj100EEvPKT0_PS1_,"axG",@progbits,_Z6kernelI20flag_heads_and_tailsiLj256ELj4ELb1ELj100EEvPKT0_PS1_,comdat
.Lfunc_end88:
	.size	_Z6kernelI20flag_heads_and_tailsiLj256ELj4ELb1ELj100EEvPKT0_PS1_, .Lfunc_end88-_Z6kernelI20flag_heads_and_tailsiLj256ELj4ELb1ELj100EEvPKT0_PS1_
                                        ; -- End function
	.set _Z6kernelI20flag_heads_and_tailsiLj256ELj4ELb1ELj100EEvPKT0_PS1_.num_vgpr, 10
	.set _Z6kernelI20flag_heads_and_tailsiLj256ELj4ELb1ELj100EEvPKT0_PS1_.num_agpr, 0
	.set _Z6kernelI20flag_heads_and_tailsiLj256ELj4ELb1ELj100EEvPKT0_PS1_.numbered_sgpr, 12
	.set _Z6kernelI20flag_heads_and_tailsiLj256ELj4ELb1ELj100EEvPKT0_PS1_.num_named_barrier, 0
	.set _Z6kernelI20flag_heads_and_tailsiLj256ELj4ELb1ELj100EEvPKT0_PS1_.private_seg_size, 0
	.set _Z6kernelI20flag_heads_and_tailsiLj256ELj4ELb1ELj100EEvPKT0_PS1_.uses_vcc, 1
	.set _Z6kernelI20flag_heads_and_tailsiLj256ELj4ELb1ELj100EEvPKT0_PS1_.uses_flat_scratch, 0
	.set _Z6kernelI20flag_heads_and_tailsiLj256ELj4ELb1ELj100EEvPKT0_PS1_.has_dyn_sized_stack, 0
	.set _Z6kernelI20flag_heads_and_tailsiLj256ELj4ELb1ELj100EEvPKT0_PS1_.has_recursion, 0
	.set _Z6kernelI20flag_heads_and_tailsiLj256ELj4ELb1ELj100EEvPKT0_PS1_.has_indirect_call, 0
	.section	.AMDGPU.csdata,"",@progbits
; Kernel info:
; codeLenInByte = 352
; TotalNumSgprs: 16
; NumVgprs: 10
; ScratchSize: 0
; MemoryBound: 0
; FloatMode: 240
; IeeeMode: 1
; LDSByteSize: 2048 bytes/workgroup (compile time only)
; SGPRBlocks: 1
; VGPRBlocks: 2
; NumSGPRsForWavesPerEU: 16
; NumVGPRsForWavesPerEU: 10
; Occupancy: 10
; WaveLimiterHint : 1
; COMPUTE_PGM_RSRC2:SCRATCH_EN: 0
; COMPUTE_PGM_RSRC2:USER_SGPR: 6
; COMPUTE_PGM_RSRC2:TRAP_HANDLER: 0
; COMPUTE_PGM_RSRC2:TGID_X_EN: 1
; COMPUTE_PGM_RSRC2:TGID_Y_EN: 0
; COMPUTE_PGM_RSRC2:TGID_Z_EN: 0
; COMPUTE_PGM_RSRC2:TIDIG_COMP_CNT: 0
	.section	.text._Z6kernelI20flag_heads_and_tailsiLj256ELj8ELb1ELj100EEvPKT0_PS1_,"axG",@progbits,_Z6kernelI20flag_heads_and_tailsiLj256ELj8ELb1ELj100EEvPKT0_PS1_,comdat
	.protected	_Z6kernelI20flag_heads_and_tailsiLj256ELj8ELb1ELj100EEvPKT0_PS1_ ; -- Begin function _Z6kernelI20flag_heads_and_tailsiLj256ELj8ELb1ELj100EEvPKT0_PS1_
	.globl	_Z6kernelI20flag_heads_and_tailsiLj256ELj8ELb1ELj100EEvPKT0_PS1_
	.p2align	8
	.type	_Z6kernelI20flag_heads_and_tailsiLj256ELj8ELb1ELj100EEvPKT0_PS1_,@function
_Z6kernelI20flag_heads_and_tailsiLj256ELj8ELb1ELj100EEvPKT0_PS1_: ; @_Z6kernelI20flag_heads_and_tailsiLj256ELj8ELb1ELj100EEvPKT0_PS1_
; %bb.0:
	s_load_dwordx4 s[8:11], s[4:5], 0x0
	s_lshl_b32 s0, s6, 11
	s_mov_b32 s1, 0
	s_lshl_b64 s[4:5], s[0:1], 2
	v_lshlrev_b32_e32 v5, 2, v0
	s_waitcnt lgkmcnt(0)
	s_add_u32 s0, s8, s4
	s_addc_u32 s1, s9, s5
	v_mov_b32_e32 v1, s1
	v_add_co_u32_e32 v2, vcc, s0, v5
	v_addc_co_u32_e32 v1, vcc, 0, v1, vcc
	s_movk_i32 s2, 0x1000
	v_add_co_u32_e32 v10, vcc, s2, v2
	v_addc_co_u32_e32 v11, vcc, 0, v1, vcc
	global_load_dword v6, v5, s[0:1]
	global_load_dword v7, v5, s[0:1] offset:1024
	global_load_dword v8, v5, s[0:1] offset:2048
	global_load_dword v9, v5, s[0:1] offset:3072
	global_load_dword v1, v[10:11], off
	global_load_dword v2, v[10:11], off offset:1024
	global_load_dword v3, v[10:11], off offset:2048
	;; [unrolled: 1-line block ×3, first 2 shown]
	s_movk_i32 s0, 0xff
	v_cmp_ne_u32_e32 vcc, 0, v0
	v_cmp_ne_u32_e64 s[0:1], s0, v0
	v_add_u32_e32 v10, -4, v5
	s_movk_i32 s6, 0x64
	s_branch .LBB89_2
.LBB89_1:                               ;   in Loop: Header=BB89_2 Depth=1
	s_or_b64 exec, exec, s[2:3]
	v_cmp_eq_u32_e64 s[2:3], v6, v7
	v_cndmask_b32_e64 v13, 0, 1, s[2:3]
	v_cmp_eq_u32_e64 s[2:3], v12, v6
	v_addc_co_u32_e64 v6, s[2:3], v6, v13, s[2:3]
	v_cmp_eq_u32_e64 s[2:3], v7, v8
	v_cndmask_b32_e64 v12, 0, 1, s[2:3]
	v_addc_co_u32_e64 v7, s[2:3], v7, v13, s[2:3]
	v_cmp_eq_u32_e64 s[2:3], v8, v9
	v_cndmask_b32_e64 v13, 0, 1, s[2:3]
	;; [unrolled: 3-line block ×6, first 2 shown]
	v_addc_co_u32_e64 v3, s[2:3], v3, v12, s[2:3]
	s_waitcnt lgkmcnt(0)
	v_cmp_eq_u32_e64 s[2:3], v4, v11
	s_add_i32 s6, s6, -1
	v_addc_co_u32_e64 v4, s[2:3], v4, v13, s[2:3]
	s_cmp_lg_u32 s6, 0
	s_barrier
	s_cbranch_scc0 .LBB89_6
.LBB89_2:                               ; =>This Inner Loop Header: Depth=1
	v_mov_b32_e32 v12, 0x7b
	s_waitcnt vmcnt(0)
	ds_write_b32 v5, v4
	s_waitcnt lgkmcnt(0)
	s_barrier
	s_and_saveexec_b64 s[2:3], vcc
; %bb.3:                                ;   in Loop: Header=BB89_2 Depth=1
	ds_read_b32 v12, v10
; %bb.4:                                ;   in Loop: Header=BB89_2 Depth=1
	s_or_b64 exec, exec, s[2:3]
	v_mov_b32_e32 v11, 0xea
	ds_write_b32 v5, v6 offset:1024
	s_waitcnt lgkmcnt(0)
	s_barrier
	s_and_saveexec_b64 s[2:3], s[0:1]
	s_cbranch_execz .LBB89_1
; %bb.5:                                ;   in Loop: Header=BB89_2 Depth=1
	ds_read_b32 v11, v5 offset:1028
	s_branch .LBB89_1
.LBB89_6:
	s_add_u32 s0, s10, s4
	s_addc_u32 s1, s11, s5
	v_lshlrev_b32_e32 v0, 2, v0
	v_mov_b32_e32 v5, s1
	v_add_co_u32_e32 v10, vcc, s0, v0
	v_addc_co_u32_e32 v11, vcc, 0, v5, vcc
	v_add_co_u32_e32 v5, vcc, 0x1000, v10
	global_store_dword v0, v6, s[0:1]
	global_store_dword v0, v7, s[0:1] offset:1024
	global_store_dword v0, v8, s[0:1] offset:2048
	;; [unrolled: 1-line block ×3, first 2 shown]
	v_addc_co_u32_e32 v6, vcc, 0, v11, vcc
	global_store_dword v[5:6], v1, off
	global_store_dword v[5:6], v2, off offset:1024
	global_store_dword v[5:6], v3, off offset:2048
	;; [unrolled: 1-line block ×3, first 2 shown]
	s_endpgm
	.section	.rodata,"a",@progbits
	.p2align	6, 0x0
	.amdhsa_kernel _Z6kernelI20flag_heads_and_tailsiLj256ELj8ELb1ELj100EEvPKT0_PS1_
		.amdhsa_group_segment_fixed_size 2048
		.amdhsa_private_segment_fixed_size 0
		.amdhsa_kernarg_size 16
		.amdhsa_user_sgpr_count 6
		.amdhsa_user_sgpr_private_segment_buffer 1
		.amdhsa_user_sgpr_dispatch_ptr 0
		.amdhsa_user_sgpr_queue_ptr 0
		.amdhsa_user_sgpr_kernarg_segment_ptr 1
		.amdhsa_user_sgpr_dispatch_id 0
		.amdhsa_user_sgpr_flat_scratch_init 0
		.amdhsa_user_sgpr_private_segment_size 0
		.amdhsa_uses_dynamic_stack 0
		.amdhsa_system_sgpr_private_segment_wavefront_offset 0
		.amdhsa_system_sgpr_workgroup_id_x 1
		.amdhsa_system_sgpr_workgroup_id_y 0
		.amdhsa_system_sgpr_workgroup_id_z 0
		.amdhsa_system_sgpr_workgroup_info 0
		.amdhsa_system_vgpr_workitem_id 0
		.amdhsa_next_free_vgpr 14
		.amdhsa_next_free_sgpr 12
		.amdhsa_reserve_vcc 1
		.amdhsa_reserve_flat_scratch 0
		.amdhsa_float_round_mode_32 0
		.amdhsa_float_round_mode_16_64 0
		.amdhsa_float_denorm_mode_32 3
		.amdhsa_float_denorm_mode_16_64 3
		.amdhsa_dx10_clamp 1
		.amdhsa_ieee_mode 1
		.amdhsa_fp16_overflow 0
		.amdhsa_exception_fp_ieee_invalid_op 0
		.amdhsa_exception_fp_denorm_src 0
		.amdhsa_exception_fp_ieee_div_zero 0
		.amdhsa_exception_fp_ieee_overflow 0
		.amdhsa_exception_fp_ieee_underflow 0
		.amdhsa_exception_fp_ieee_inexact 0
		.amdhsa_exception_int_div_zero 0
	.end_amdhsa_kernel
	.section	.text._Z6kernelI20flag_heads_and_tailsiLj256ELj8ELb1ELj100EEvPKT0_PS1_,"axG",@progbits,_Z6kernelI20flag_heads_and_tailsiLj256ELj8ELb1ELj100EEvPKT0_PS1_,comdat
.Lfunc_end89:
	.size	_Z6kernelI20flag_heads_and_tailsiLj256ELj8ELb1ELj100EEvPKT0_PS1_, .Lfunc_end89-_Z6kernelI20flag_heads_and_tailsiLj256ELj8ELb1ELj100EEvPKT0_PS1_
                                        ; -- End function
	.set _Z6kernelI20flag_heads_and_tailsiLj256ELj8ELb1ELj100EEvPKT0_PS1_.num_vgpr, 14
	.set _Z6kernelI20flag_heads_and_tailsiLj256ELj8ELb1ELj100EEvPKT0_PS1_.num_agpr, 0
	.set _Z6kernelI20flag_heads_and_tailsiLj256ELj8ELb1ELj100EEvPKT0_PS1_.numbered_sgpr, 12
	.set _Z6kernelI20flag_heads_and_tailsiLj256ELj8ELb1ELj100EEvPKT0_PS1_.num_named_barrier, 0
	.set _Z6kernelI20flag_heads_and_tailsiLj256ELj8ELb1ELj100EEvPKT0_PS1_.private_seg_size, 0
	.set _Z6kernelI20flag_heads_and_tailsiLj256ELj8ELb1ELj100EEvPKT0_PS1_.uses_vcc, 1
	.set _Z6kernelI20flag_heads_and_tailsiLj256ELj8ELb1ELj100EEvPKT0_PS1_.uses_flat_scratch, 0
	.set _Z6kernelI20flag_heads_and_tailsiLj256ELj8ELb1ELj100EEvPKT0_PS1_.has_dyn_sized_stack, 0
	.set _Z6kernelI20flag_heads_and_tailsiLj256ELj8ELb1ELj100EEvPKT0_PS1_.has_recursion, 0
	.set _Z6kernelI20flag_heads_and_tailsiLj256ELj8ELb1ELj100EEvPKT0_PS1_.has_indirect_call, 0
	.section	.AMDGPU.csdata,"",@progbits
; Kernel info:
; codeLenInByte = 560
; TotalNumSgprs: 16
; NumVgprs: 14
; ScratchSize: 0
; MemoryBound: 0
; FloatMode: 240
; IeeeMode: 1
; LDSByteSize: 2048 bytes/workgroup (compile time only)
; SGPRBlocks: 1
; VGPRBlocks: 3
; NumSGPRsForWavesPerEU: 16
; NumVGPRsForWavesPerEU: 14
; Occupancy: 10
; WaveLimiterHint : 1
; COMPUTE_PGM_RSRC2:SCRATCH_EN: 0
; COMPUTE_PGM_RSRC2:USER_SGPR: 6
; COMPUTE_PGM_RSRC2:TRAP_HANDLER: 0
; COMPUTE_PGM_RSRC2:TGID_X_EN: 1
; COMPUTE_PGM_RSRC2:TGID_Y_EN: 0
; COMPUTE_PGM_RSRC2:TGID_Z_EN: 0
; COMPUTE_PGM_RSRC2:TIDIG_COMP_CNT: 0
	.section	.text._Z6kernelI20flag_heads_and_tailsaLj256ELj1ELb0ELj100EEvPKT0_PS1_,"axG",@progbits,_Z6kernelI20flag_heads_and_tailsaLj256ELj1ELb0ELj100EEvPKT0_PS1_,comdat
	.protected	_Z6kernelI20flag_heads_and_tailsaLj256ELj1ELb0ELj100EEvPKT0_PS1_ ; -- Begin function _Z6kernelI20flag_heads_and_tailsaLj256ELj1ELb0ELj100EEvPKT0_PS1_
	.globl	_Z6kernelI20flag_heads_and_tailsaLj256ELj1ELb0ELj100EEvPKT0_PS1_
	.p2align	8
	.type	_Z6kernelI20flag_heads_and_tailsaLj256ELj1ELb0ELj100EEvPKT0_PS1_,@function
_Z6kernelI20flag_heads_and_tailsaLj256ELj1ELb0ELj100EEvPKT0_PS1_: ; @_Z6kernelI20flag_heads_and_tailsaLj256ELj1ELb0ELj100EEvPKT0_PS1_
; %bb.0:
	s_load_dwordx4 s[0:3], s[4:5], 0x0
	s_lshl_b32 s6, s6, 8
	v_cmp_ne_u32_e32 vcc, 0, v0
	v_add_u32_e32 v2, -1, v0
	s_movk_i32 s7, 0x64
	s_waitcnt lgkmcnt(0)
	s_add_u32 s0, s0, s6
	s_addc_u32 s1, s1, 0
	global_load_ubyte v1, v0, s[0:1]
	s_movk_i32 s0, 0xff
	v_cmp_ne_u32_e64 s[0:1], s0, v0
	s_branch .LBB90_2
.LBB90_1:                               ;   in Loop: Header=BB90_2 Depth=1
	s_or_b64 exec, exec, s[4:5]
	v_add_u16_e32 v1, v4, v1
	s_add_i32 s7, s7, -1
	v_add_u16_e32 v1, v1, v3
	s_cmp_lg_u32 s7, 0
	s_barrier
	s_cbranch_scc0 .LBB90_6
.LBB90_2:                               ; =>This Inner Loop Header: Depth=1
	v_mov_b32_e32 v3, 1
	v_mov_b32_e32 v4, 1
	s_waitcnt vmcnt(0)
	ds_write_b8 v0, v1
	s_waitcnt lgkmcnt(0)
	s_barrier
	s_and_saveexec_b64 s[4:5], vcc
	s_cbranch_execz .LBB90_4
; %bb.3:                                ;   in Loop: Header=BB90_2 Depth=1
	ds_read_u8 v4, v2
	s_waitcnt lgkmcnt(0)
	v_cmp_eq_u16_sdwa s[8:9], v4, v1 src0_sel:DWORD src1_sel:BYTE_0
	v_cndmask_b32_e64 v4, 0, 1, s[8:9]
.LBB90_4:                               ;   in Loop: Header=BB90_2 Depth=1
	s_or_b64 exec, exec, s[4:5]
	ds_write_b8 v0, v1 offset:256
	s_waitcnt lgkmcnt(0)
	s_barrier
	s_and_saveexec_b64 s[4:5], s[0:1]
	s_cbranch_execz .LBB90_1
; %bb.5:                                ;   in Loop: Header=BB90_2 Depth=1
	ds_read_u8 v3, v0 offset:257
	s_waitcnt lgkmcnt(0)
	v_cmp_eq_u16_sdwa s[8:9], v1, v3 src0_sel:BYTE_0 src1_sel:DWORD
	v_cndmask_b32_e64 v3, 0, 1, s[8:9]
	s_branch .LBB90_1
.LBB90_6:
	s_add_u32 s0, s2, s6
	s_addc_u32 s1, s3, 0
	v_mov_b32_e32 v3, s1
	v_add_co_u32_e32 v2, vcc, s0, v0
	v_addc_co_u32_e32 v3, vcc, 0, v3, vcc
	global_store_byte v[2:3], v1, off
	s_endpgm
	.section	.rodata,"a",@progbits
	.p2align	6, 0x0
	.amdhsa_kernel _Z6kernelI20flag_heads_and_tailsaLj256ELj1ELb0ELj100EEvPKT0_PS1_
		.amdhsa_group_segment_fixed_size 512
		.amdhsa_private_segment_fixed_size 0
		.amdhsa_kernarg_size 16
		.amdhsa_user_sgpr_count 6
		.amdhsa_user_sgpr_private_segment_buffer 1
		.amdhsa_user_sgpr_dispatch_ptr 0
		.amdhsa_user_sgpr_queue_ptr 0
		.amdhsa_user_sgpr_kernarg_segment_ptr 1
		.amdhsa_user_sgpr_dispatch_id 0
		.amdhsa_user_sgpr_flat_scratch_init 0
		.amdhsa_user_sgpr_private_segment_size 0
		.amdhsa_uses_dynamic_stack 0
		.amdhsa_system_sgpr_private_segment_wavefront_offset 0
		.amdhsa_system_sgpr_workgroup_id_x 1
		.amdhsa_system_sgpr_workgroup_id_y 0
		.amdhsa_system_sgpr_workgroup_id_z 0
		.amdhsa_system_sgpr_workgroup_info 0
		.amdhsa_system_vgpr_workitem_id 0
		.amdhsa_next_free_vgpr 5
		.amdhsa_next_free_sgpr 10
		.amdhsa_reserve_vcc 1
		.amdhsa_reserve_flat_scratch 0
		.amdhsa_float_round_mode_32 0
		.amdhsa_float_round_mode_16_64 0
		.amdhsa_float_denorm_mode_32 3
		.amdhsa_float_denorm_mode_16_64 3
		.amdhsa_dx10_clamp 1
		.amdhsa_ieee_mode 1
		.amdhsa_fp16_overflow 0
		.amdhsa_exception_fp_ieee_invalid_op 0
		.amdhsa_exception_fp_denorm_src 0
		.amdhsa_exception_fp_ieee_div_zero 0
		.amdhsa_exception_fp_ieee_overflow 0
		.amdhsa_exception_fp_ieee_underflow 0
		.amdhsa_exception_fp_ieee_inexact 0
		.amdhsa_exception_int_div_zero 0
	.end_amdhsa_kernel
	.section	.text._Z6kernelI20flag_heads_and_tailsaLj256ELj1ELb0ELj100EEvPKT0_PS1_,"axG",@progbits,_Z6kernelI20flag_heads_and_tailsaLj256ELj1ELb0ELj100EEvPKT0_PS1_,comdat
.Lfunc_end90:
	.size	_Z6kernelI20flag_heads_and_tailsaLj256ELj1ELb0ELj100EEvPKT0_PS1_, .Lfunc_end90-_Z6kernelI20flag_heads_and_tailsaLj256ELj1ELb0ELj100EEvPKT0_PS1_
                                        ; -- End function
	.set _Z6kernelI20flag_heads_and_tailsaLj256ELj1ELb0ELj100EEvPKT0_PS1_.num_vgpr, 5
	.set _Z6kernelI20flag_heads_and_tailsaLj256ELj1ELb0ELj100EEvPKT0_PS1_.num_agpr, 0
	.set _Z6kernelI20flag_heads_and_tailsaLj256ELj1ELb0ELj100EEvPKT0_PS1_.numbered_sgpr, 10
	.set _Z6kernelI20flag_heads_and_tailsaLj256ELj1ELb0ELj100EEvPKT0_PS1_.num_named_barrier, 0
	.set _Z6kernelI20flag_heads_and_tailsaLj256ELj1ELb0ELj100EEvPKT0_PS1_.private_seg_size, 0
	.set _Z6kernelI20flag_heads_and_tailsaLj256ELj1ELb0ELj100EEvPKT0_PS1_.uses_vcc, 1
	.set _Z6kernelI20flag_heads_and_tailsaLj256ELj1ELb0ELj100EEvPKT0_PS1_.uses_flat_scratch, 0
	.set _Z6kernelI20flag_heads_and_tailsaLj256ELj1ELb0ELj100EEvPKT0_PS1_.has_dyn_sized_stack, 0
	.set _Z6kernelI20flag_heads_and_tailsaLj256ELj1ELb0ELj100EEvPKT0_PS1_.has_recursion, 0
	.set _Z6kernelI20flag_heads_and_tailsaLj256ELj1ELb0ELj100EEvPKT0_PS1_.has_indirect_call, 0
	.section	.AMDGPU.csdata,"",@progbits
; Kernel info:
; codeLenInByte = 244
; TotalNumSgprs: 14
; NumVgprs: 5
; ScratchSize: 0
; MemoryBound: 0
; FloatMode: 240
; IeeeMode: 1
; LDSByteSize: 512 bytes/workgroup (compile time only)
; SGPRBlocks: 1
; VGPRBlocks: 1
; NumSGPRsForWavesPerEU: 14
; NumVGPRsForWavesPerEU: 5
; Occupancy: 10
; WaveLimiterHint : 0
; COMPUTE_PGM_RSRC2:SCRATCH_EN: 0
; COMPUTE_PGM_RSRC2:USER_SGPR: 6
; COMPUTE_PGM_RSRC2:TRAP_HANDLER: 0
; COMPUTE_PGM_RSRC2:TGID_X_EN: 1
; COMPUTE_PGM_RSRC2:TGID_Y_EN: 0
; COMPUTE_PGM_RSRC2:TGID_Z_EN: 0
; COMPUTE_PGM_RSRC2:TIDIG_COMP_CNT: 0
	.section	.text._Z6kernelI20flag_heads_and_tailsaLj256ELj2ELb0ELj100EEvPKT0_PS1_,"axG",@progbits,_Z6kernelI20flag_heads_and_tailsaLj256ELj2ELb0ELj100EEvPKT0_PS1_,comdat
	.protected	_Z6kernelI20flag_heads_and_tailsaLj256ELj2ELb0ELj100EEvPKT0_PS1_ ; -- Begin function _Z6kernelI20flag_heads_and_tailsaLj256ELj2ELb0ELj100EEvPKT0_PS1_
	.globl	_Z6kernelI20flag_heads_and_tailsaLj256ELj2ELb0ELj100EEvPKT0_PS1_
	.p2align	8
	.type	_Z6kernelI20flag_heads_and_tailsaLj256ELj2ELb0ELj100EEvPKT0_PS1_,@function
_Z6kernelI20flag_heads_and_tailsaLj256ELj2ELb0ELj100EEvPKT0_PS1_: ; @_Z6kernelI20flag_heads_and_tailsaLj256ELj2ELb0ELj100EEvPKT0_PS1_
; %bb.0:
	s_load_dwordx4 s[8:11], s[4:5], 0x0
	s_lshl_b32 s6, s6, 9
	s_mov_b32 s2, 0xc0c0004
	v_cmp_ne_u32_e32 vcc, 0, v0
	v_add_u32_e32 v2, -1, v0
	s_waitcnt lgkmcnt(0)
	s_add_u32 s0, s8, s6
	s_addc_u32 s1, s9, 0
	global_load_ubyte v1, v0, s[0:1] offset:256
	global_load_ubyte v3, v0, s[0:1]
	s_movk_i32 s0, 0xff
	v_cmp_ne_u32_e64 s[0:1], s0, v0
	s_movk_i32 s7, 0x64
	s_waitcnt vmcnt(0)
	v_perm_b32 v1, v3, v1, s2
	s_branch .LBB91_2
.LBB91_1:                               ;   in Loop: Header=BB91_2 Depth=1
	s_or_b64 exec, exec, s[4:5]
	v_add_u16_e32 v3, v6, v3
	v_add_u16_e32 v1, v5, v1
	;; [unrolled: 1-line block ×3, first 2 shown]
	v_add_u16_sdwa v3, v3, v4 dst_sel:BYTE_1 dst_unused:UNUSED_PAD src0_sel:DWORD src1_sel:DWORD
	v_or_b32_sdwa v1, v1, v3 dst_sel:DWORD dst_unused:UNUSED_PAD src0_sel:BYTE_0 src1_sel:DWORD
	s_add_i32 s7, s7, -1
	v_and_b32_e32 v1, 0xffff, v1
	s_cmp_lg_u32 s7, 0
	s_barrier
	s_cbranch_scc0 .LBB91_6
.LBB91_2:                               ; =>This Inner Loop Header: Depth=1
	v_lshrrev_b16_e32 v3, 8, v1
	v_cmp_eq_u16_sdwa s[2:3], v1, v3 src0_sel:BYTE_0 src1_sel:DWORD
	v_mov_b32_e32 v4, 1
	v_mov_b32_e32 v5, 1
	ds_write_b8 v0, v3
	s_waitcnt lgkmcnt(0)
	s_barrier
	s_and_saveexec_b64 s[4:5], vcc
	s_cbranch_execz .LBB91_4
; %bb.3:                                ;   in Loop: Header=BB91_2 Depth=1
	ds_read_u8 v5, v2
	s_waitcnt lgkmcnt(0)
	v_cmp_eq_u16_sdwa s[8:9], v5, v1 src0_sel:DWORD src1_sel:BYTE_0
	v_cndmask_b32_e64 v5, 0, 1, s[8:9]
.LBB91_4:                               ;   in Loop: Header=BB91_2 Depth=1
	s_or_b64 exec, exec, s[4:5]
	v_cndmask_b32_e64 v6, 0, 1, s[2:3]
	ds_write_b8 v0, v1 offset:256
	s_waitcnt lgkmcnt(0)
	s_barrier
	s_and_saveexec_b64 s[4:5], s[0:1]
	s_cbranch_execz .LBB91_1
; %bb.5:                                ;   in Loop: Header=BB91_2 Depth=1
	ds_read_u8 v4, v0 offset:257
	s_waitcnt lgkmcnt(0)
	v_cmp_eq_u16_e64 s[2:3], v3, v4
	v_cndmask_b32_e64 v4, 0, 1, s[2:3]
	s_branch .LBB91_1
.LBB91_6:
	s_add_u32 s0, s10, s6
	s_addc_u32 s1, s11, 0
	v_mov_b32_e32 v3, s1
	v_add_co_u32_e32 v2, vcc, s0, v0
	v_addc_co_u32_e32 v3, vcc, 0, v3, vcc
	v_lshrrev_b16_e32 v0, 8, v1
	global_store_byte v[2:3], v1, off
	global_store_byte v[2:3], v0, off offset:256
	s_endpgm
	.section	.rodata,"a",@progbits
	.p2align	6, 0x0
	.amdhsa_kernel _Z6kernelI20flag_heads_and_tailsaLj256ELj2ELb0ELj100EEvPKT0_PS1_
		.amdhsa_group_segment_fixed_size 512
		.amdhsa_private_segment_fixed_size 0
		.amdhsa_kernarg_size 16
		.amdhsa_user_sgpr_count 6
		.amdhsa_user_sgpr_private_segment_buffer 1
		.amdhsa_user_sgpr_dispatch_ptr 0
		.amdhsa_user_sgpr_queue_ptr 0
		.amdhsa_user_sgpr_kernarg_segment_ptr 1
		.amdhsa_user_sgpr_dispatch_id 0
		.amdhsa_user_sgpr_flat_scratch_init 0
		.amdhsa_user_sgpr_private_segment_size 0
		.amdhsa_uses_dynamic_stack 0
		.amdhsa_system_sgpr_private_segment_wavefront_offset 0
		.amdhsa_system_sgpr_workgroup_id_x 1
		.amdhsa_system_sgpr_workgroup_id_y 0
		.amdhsa_system_sgpr_workgroup_id_z 0
		.amdhsa_system_sgpr_workgroup_info 0
		.amdhsa_system_vgpr_workitem_id 0
		.amdhsa_next_free_vgpr 7
		.amdhsa_next_free_sgpr 12
		.amdhsa_reserve_vcc 1
		.amdhsa_reserve_flat_scratch 0
		.amdhsa_float_round_mode_32 0
		.amdhsa_float_round_mode_16_64 0
		.amdhsa_float_denorm_mode_32 3
		.amdhsa_float_denorm_mode_16_64 3
		.amdhsa_dx10_clamp 1
		.amdhsa_ieee_mode 1
		.amdhsa_fp16_overflow 0
		.amdhsa_exception_fp_ieee_invalid_op 0
		.amdhsa_exception_fp_denorm_src 0
		.amdhsa_exception_fp_ieee_div_zero 0
		.amdhsa_exception_fp_ieee_overflow 0
		.amdhsa_exception_fp_ieee_underflow 0
		.amdhsa_exception_fp_ieee_inexact 0
		.amdhsa_exception_int_div_zero 0
	.end_amdhsa_kernel
	.section	.text._Z6kernelI20flag_heads_and_tailsaLj256ELj2ELb0ELj100EEvPKT0_PS1_,"axG",@progbits,_Z6kernelI20flag_heads_and_tailsaLj256ELj2ELb0ELj100EEvPKT0_PS1_,comdat
.Lfunc_end91:
	.size	_Z6kernelI20flag_heads_and_tailsaLj256ELj2ELb0ELj100EEvPKT0_PS1_, .Lfunc_end91-_Z6kernelI20flag_heads_and_tailsaLj256ELj2ELb0ELj100EEvPKT0_PS1_
                                        ; -- End function
	.set _Z6kernelI20flag_heads_and_tailsaLj256ELj2ELb0ELj100EEvPKT0_PS1_.num_vgpr, 7
	.set _Z6kernelI20flag_heads_and_tailsaLj256ELj2ELb0ELj100EEvPKT0_PS1_.num_agpr, 0
	.set _Z6kernelI20flag_heads_and_tailsaLj256ELj2ELb0ELj100EEvPKT0_PS1_.numbered_sgpr, 12
	.set _Z6kernelI20flag_heads_and_tailsaLj256ELj2ELb0ELj100EEvPKT0_PS1_.num_named_barrier, 0
	.set _Z6kernelI20flag_heads_and_tailsaLj256ELj2ELb0ELj100EEvPKT0_PS1_.private_seg_size, 0
	.set _Z6kernelI20flag_heads_and_tailsaLj256ELj2ELb0ELj100EEvPKT0_PS1_.uses_vcc, 1
	.set _Z6kernelI20flag_heads_and_tailsaLj256ELj2ELb0ELj100EEvPKT0_PS1_.uses_flat_scratch, 0
	.set _Z6kernelI20flag_heads_and_tailsaLj256ELj2ELb0ELj100EEvPKT0_PS1_.has_dyn_sized_stack, 0
	.set _Z6kernelI20flag_heads_and_tailsaLj256ELj2ELb0ELj100EEvPKT0_PS1_.has_recursion, 0
	.set _Z6kernelI20flag_heads_and_tailsaLj256ELj2ELb0ELj100EEvPKT0_PS1_.has_indirect_call, 0
	.section	.AMDGPU.csdata,"",@progbits
; Kernel info:
; codeLenInByte = 328
; TotalNumSgprs: 16
; NumVgprs: 7
; ScratchSize: 0
; MemoryBound: 0
; FloatMode: 240
; IeeeMode: 1
; LDSByteSize: 512 bytes/workgroup (compile time only)
; SGPRBlocks: 1
; VGPRBlocks: 1
; NumSGPRsForWavesPerEU: 16
; NumVGPRsForWavesPerEU: 7
; Occupancy: 10
; WaveLimiterHint : 1
; COMPUTE_PGM_RSRC2:SCRATCH_EN: 0
; COMPUTE_PGM_RSRC2:USER_SGPR: 6
; COMPUTE_PGM_RSRC2:TRAP_HANDLER: 0
; COMPUTE_PGM_RSRC2:TGID_X_EN: 1
; COMPUTE_PGM_RSRC2:TGID_Y_EN: 0
; COMPUTE_PGM_RSRC2:TGID_Z_EN: 0
; COMPUTE_PGM_RSRC2:TIDIG_COMP_CNT: 0
	.section	.text._Z6kernelI20flag_heads_and_tailsaLj256ELj3ELb0ELj100EEvPKT0_PS1_,"axG",@progbits,_Z6kernelI20flag_heads_and_tailsaLj256ELj3ELb0ELj100EEvPKT0_PS1_,comdat
	.protected	_Z6kernelI20flag_heads_and_tailsaLj256ELj3ELb0ELj100EEvPKT0_PS1_ ; -- Begin function _Z6kernelI20flag_heads_and_tailsaLj256ELj3ELb0ELj100EEvPKT0_PS1_
	.globl	_Z6kernelI20flag_heads_and_tailsaLj256ELj3ELb0ELj100EEvPKT0_PS1_
	.p2align	8
	.type	_Z6kernelI20flag_heads_and_tailsaLj256ELj3ELb0ELj100EEvPKT0_PS1_,@function
_Z6kernelI20flag_heads_and_tailsaLj256ELj3ELb0ELj100EEvPKT0_PS1_: ; @_Z6kernelI20flag_heads_and_tailsaLj256ELj3ELb0ELj100EEvPKT0_PS1_
; %bb.0:
	s_load_dwordx4 s[0:3], s[4:5], 0x0
	s_mul_i32 s10, s6, 0x300
	s_mov_b32 s4, 0xc0c0004
	s_movk_i32 s11, 0x64
	v_cmp_ne_u32_e32 vcc, 0, v0
	s_waitcnt lgkmcnt(0)
	s_add_u32 s0, s0, s10
	s_addc_u32 s1, s1, 0
	global_load_ubyte v1, v0, s[0:1] offset:256
	global_load_ubyte v3, v0, s[0:1] offset:512
	global_load_ubyte v4, v0, s[0:1]
	s_movk_i32 s0, 0xff
	v_cmp_ne_u32_e64 s[0:1], s0, v0
	v_add_u32_e32 v2, -1, v0
	s_mov_b32 s12, 0xc0c0104
	s_waitcnt vmcnt(0)
	v_perm_b32 v1, v4, v1, s4
	v_lshl_or_b32 v1, v3, 16, v1
	s_branch .LBB92_2
.LBB92_1:                               ;   in Loop: Header=BB92_2 Depth=1
	s_or_b64 exec, exec, s[4:5]
	v_add_u16_e32 v3, v7, v3
	v_add_u16_e32 v5, v5, v1
	v_add_u16_sdwa v1, v6, v1 dst_sel:DWORD dst_unused:UNUSED_PAD src0_sel:DWORD src1_sel:BYTE_1
	v_add_u16_e32 v3, v3, v4
	v_and_b32_e32 v4, 0xff, v3
	v_add_u16_sdwa v1, v1, v7 dst_sel:BYTE_1 dst_unused:UNUSED_PAD src0_sel:DWORD src1_sel:DWORD
	v_add_u16_e32 v5, v5, v6
	v_perm_b32 v1, v5, v1, s12
	v_lshlrev_b32_e32 v4, 16, v4
	s_add_i32 s11, s11, -1
	v_or_b32_e32 v1, v1, v4
	s_cmp_lg_u32 s11, 0
	s_barrier
	s_cbranch_scc0 .LBB92_6
.LBB92_2:                               ; =>This Inner Loop Header: Depth=1
	v_lshrrev_b32_e32 v3, 16, v1
	v_lshrrev_b32_e32 v4, 8, v1
	v_cmp_eq_u16_sdwa s[4:5], v4, v3 src0_sel:BYTE_0 src1_sel:BYTE_0
	v_cmp_eq_u16_sdwa s[6:7], v1, v4 src0_sel:BYTE_0 src1_sel:BYTE_0
	v_mov_b32_e32 v4, 1
	v_mov_b32_e32 v5, 1
	ds_write_b8 v0, v3
	s_waitcnt lgkmcnt(0)
	s_barrier
	s_and_saveexec_b64 s[8:9], vcc
	s_cbranch_execz .LBB92_4
; %bb.3:                                ;   in Loop: Header=BB92_2 Depth=1
	ds_read_u8 v5, v2
	s_waitcnt lgkmcnt(0)
	v_cmp_eq_u16_sdwa s[14:15], v5, v1 src0_sel:DWORD src1_sel:BYTE_0
	v_cndmask_b32_e64 v5, 0, 1, s[14:15]
.LBB92_4:                               ;   in Loop: Header=BB92_2 Depth=1
	s_or_b64 exec, exec, s[8:9]
	v_cndmask_b32_e64 v7, 0, 1, s[4:5]
	v_cndmask_b32_e64 v6, 0, 1, s[6:7]
	ds_write_b8 v0, v1 offset:256
	s_waitcnt lgkmcnt(0)
	s_barrier
	s_and_saveexec_b64 s[4:5], s[0:1]
	s_cbranch_execz .LBB92_1
; %bb.5:                                ;   in Loop: Header=BB92_2 Depth=1
	ds_read_u8 v4, v0 offset:257
	s_waitcnt lgkmcnt(0)
	v_cmp_eq_u16_sdwa s[6:7], v3, v4 src0_sel:BYTE_0 src1_sel:DWORD
	v_cndmask_b32_e64 v4, 0, 1, s[6:7]
	s_branch .LBB92_1
.LBB92_6:
	s_add_u32 s0, s2, s10
	s_addc_u32 s1, s3, 0
	v_mov_b32_e32 v2, s1
	v_add_co_u32_e32 v4, vcc, s0, v0
	v_addc_co_u32_e32 v5, vcc, 0, v2, vcc
	v_lshrrev_b32_e32 v0, 8, v1
	global_store_byte v[4:5], v1, off
	global_store_byte v[4:5], v0, off offset:256
	global_store_byte v[4:5], v3, off offset:512
	s_endpgm
	.section	.rodata,"a",@progbits
	.p2align	6, 0x0
	.amdhsa_kernel _Z6kernelI20flag_heads_and_tailsaLj256ELj3ELb0ELj100EEvPKT0_PS1_
		.amdhsa_group_segment_fixed_size 512
		.amdhsa_private_segment_fixed_size 0
		.amdhsa_kernarg_size 16
		.amdhsa_user_sgpr_count 6
		.amdhsa_user_sgpr_private_segment_buffer 1
		.amdhsa_user_sgpr_dispatch_ptr 0
		.amdhsa_user_sgpr_queue_ptr 0
		.amdhsa_user_sgpr_kernarg_segment_ptr 1
		.amdhsa_user_sgpr_dispatch_id 0
		.amdhsa_user_sgpr_flat_scratch_init 0
		.amdhsa_user_sgpr_private_segment_size 0
		.amdhsa_uses_dynamic_stack 0
		.amdhsa_system_sgpr_private_segment_wavefront_offset 0
		.amdhsa_system_sgpr_workgroup_id_x 1
		.amdhsa_system_sgpr_workgroup_id_y 0
		.amdhsa_system_sgpr_workgroup_id_z 0
		.amdhsa_system_sgpr_workgroup_info 0
		.amdhsa_system_vgpr_workitem_id 0
		.amdhsa_next_free_vgpr 8
		.amdhsa_next_free_sgpr 16
		.amdhsa_reserve_vcc 1
		.amdhsa_reserve_flat_scratch 0
		.amdhsa_float_round_mode_32 0
		.amdhsa_float_round_mode_16_64 0
		.amdhsa_float_denorm_mode_32 3
		.amdhsa_float_denorm_mode_16_64 3
		.amdhsa_dx10_clamp 1
		.amdhsa_ieee_mode 1
		.amdhsa_fp16_overflow 0
		.amdhsa_exception_fp_ieee_invalid_op 0
		.amdhsa_exception_fp_denorm_src 0
		.amdhsa_exception_fp_ieee_div_zero 0
		.amdhsa_exception_fp_ieee_overflow 0
		.amdhsa_exception_fp_ieee_underflow 0
		.amdhsa_exception_fp_ieee_inexact 0
		.amdhsa_exception_int_div_zero 0
	.end_amdhsa_kernel
	.section	.text._Z6kernelI20flag_heads_and_tailsaLj256ELj3ELb0ELj100EEvPKT0_PS1_,"axG",@progbits,_Z6kernelI20flag_heads_and_tailsaLj256ELj3ELb0ELj100EEvPKT0_PS1_,comdat
.Lfunc_end92:
	.size	_Z6kernelI20flag_heads_and_tailsaLj256ELj3ELb0ELj100EEvPKT0_PS1_, .Lfunc_end92-_Z6kernelI20flag_heads_and_tailsaLj256ELj3ELb0ELj100EEvPKT0_PS1_
                                        ; -- End function
	.set _Z6kernelI20flag_heads_and_tailsaLj256ELj3ELb0ELj100EEvPKT0_PS1_.num_vgpr, 8
	.set _Z6kernelI20flag_heads_and_tailsaLj256ELj3ELb0ELj100EEvPKT0_PS1_.num_agpr, 0
	.set _Z6kernelI20flag_heads_and_tailsaLj256ELj3ELb0ELj100EEvPKT0_PS1_.numbered_sgpr, 16
	.set _Z6kernelI20flag_heads_and_tailsaLj256ELj3ELb0ELj100EEvPKT0_PS1_.num_named_barrier, 0
	.set _Z6kernelI20flag_heads_and_tailsaLj256ELj3ELb0ELj100EEvPKT0_PS1_.private_seg_size, 0
	.set _Z6kernelI20flag_heads_and_tailsaLj256ELj3ELb0ELj100EEvPKT0_PS1_.uses_vcc, 1
	.set _Z6kernelI20flag_heads_and_tailsaLj256ELj3ELb0ELj100EEvPKT0_PS1_.uses_flat_scratch, 0
	.set _Z6kernelI20flag_heads_and_tailsaLj256ELj3ELb0ELj100EEvPKT0_PS1_.has_dyn_sized_stack, 0
	.set _Z6kernelI20flag_heads_and_tailsaLj256ELj3ELb0ELj100EEvPKT0_PS1_.has_recursion, 0
	.set _Z6kernelI20flag_heads_and_tailsaLj256ELj3ELb0ELj100EEvPKT0_PS1_.has_indirect_call, 0
	.section	.AMDGPU.csdata,"",@progbits
; Kernel info:
; codeLenInByte = 404
; TotalNumSgprs: 20
; NumVgprs: 8
; ScratchSize: 0
; MemoryBound: 0
; FloatMode: 240
; IeeeMode: 1
; LDSByteSize: 512 bytes/workgroup (compile time only)
; SGPRBlocks: 2
; VGPRBlocks: 1
; NumSGPRsForWavesPerEU: 20
; NumVGPRsForWavesPerEU: 8
; Occupancy: 10
; WaveLimiterHint : 1
; COMPUTE_PGM_RSRC2:SCRATCH_EN: 0
; COMPUTE_PGM_RSRC2:USER_SGPR: 6
; COMPUTE_PGM_RSRC2:TRAP_HANDLER: 0
; COMPUTE_PGM_RSRC2:TGID_X_EN: 1
; COMPUTE_PGM_RSRC2:TGID_Y_EN: 0
; COMPUTE_PGM_RSRC2:TGID_Z_EN: 0
; COMPUTE_PGM_RSRC2:TIDIG_COMP_CNT: 0
	.section	.text._Z6kernelI20flag_heads_and_tailsaLj256ELj4ELb0ELj100EEvPKT0_PS1_,"axG",@progbits,_Z6kernelI20flag_heads_and_tailsaLj256ELj4ELb0ELj100EEvPKT0_PS1_,comdat
	.protected	_Z6kernelI20flag_heads_and_tailsaLj256ELj4ELb0ELj100EEvPKT0_PS1_ ; -- Begin function _Z6kernelI20flag_heads_and_tailsaLj256ELj4ELb0ELj100EEvPKT0_PS1_
	.globl	_Z6kernelI20flag_heads_and_tailsaLj256ELj4ELb0ELj100EEvPKT0_PS1_
	.p2align	8
	.type	_Z6kernelI20flag_heads_and_tailsaLj256ELj4ELb0ELj100EEvPKT0_PS1_,@function
_Z6kernelI20flag_heads_and_tailsaLj256ELj4ELb0ELj100EEvPKT0_PS1_: ; @_Z6kernelI20flag_heads_and_tailsaLj256ELj4ELb0ELj100EEvPKT0_PS1_
; %bb.0:
	s_load_dwordx4 s[8:11], s[4:5], 0x0
	s_lshl_b32 s12, s6, 10
	s_mov_b32 s2, 0xc0c0004
	s_movk_i32 s13, 0xff
	v_cmp_ne_u32_e32 vcc, 0, v0
	s_waitcnt lgkmcnt(0)
	s_add_u32 s0, s8, s12
	s_addc_u32 s1, s9, 0
	global_load_ubyte v1, v0, s[0:1] offset:256
	global_load_ubyte v3, v0, s[0:1] offset:512
	global_load_ubyte v4, v0, s[0:1]
	global_load_ubyte v5, v0, s[0:1] offset:768
	v_cmp_ne_u32_e64 s[0:1], s13, v0
	v_add_u32_e32 v2, -1, v0
	s_movk_i32 s14, 0x64
	s_waitcnt vmcnt(1)
	v_perm_b32 v1, v4, v1, s2
	s_waitcnt vmcnt(0)
	v_perm_b32 v3, v3, v5, s2
	v_lshl_or_b32 v1, v3, 16, v1
	s_branch .LBB93_2
.LBB93_1:                               ;   in Loop: Header=BB93_2 Depth=1
	s_or_b64 exec, exec, s[4:5]
	v_add_u16_sdwa v9, v7, v1 dst_sel:DWORD dst_unused:UNUSED_PAD src0_sel:DWORD src1_sel:WORD_1
	v_add_u16_sdwa v10, v8, v1 dst_sel:DWORD dst_unused:UNUSED_PAD src0_sel:DWORD src1_sel:BYTE_1
	v_add_u16_e32 v1, v5, v1
	v_add_u16_e32 v3, v6, v3
	v_add_u16_e32 v1, v1, v8
	v_add_u16_sdwa v5, v10, v7 dst_sel:BYTE_1 dst_unused:UNUSED_PAD src0_sel:DWORD src1_sel:DWORD
	v_or_b32_sdwa v1, v1, v5 dst_sel:DWORD dst_unused:UNUSED_PAD src0_sel:BYTE_0 src1_sel:DWORD
	v_add_u16_e32 v5, v9, v6
	v_add_u16_sdwa v3, v3, v4 dst_sel:BYTE_1 dst_unused:UNUSED_PAD src0_sel:DWORD src1_sel:DWORD
	v_or_b32_sdwa v3, v5, v3 dst_sel:WORD_1 dst_unused:UNUSED_PAD src0_sel:BYTE_0 src1_sel:DWORD
	s_add_i32 s14, s14, -1
	v_or_b32_sdwa v1, v1, v3 dst_sel:DWORD dst_unused:UNUSED_PAD src0_sel:WORD_0 src1_sel:DWORD
	s_cmp_lg_u32 s14, 0
	s_barrier
	s_cbranch_scc0 .LBB93_6
.LBB93_2:                               ; =>This Inner Loop Header: Depth=1
	v_lshrrev_b32_e32 v3, 24, v1
	v_and_b32_sdwa v4, v1, s13 dst_sel:DWORD dst_unused:UNUSED_PAD src0_sel:WORD_1 src1_sel:DWORD
	v_lshrrev_b32_e32 v5, 8, v1
	v_cmp_eq_u16_e64 s[2:3], v4, v3
	v_cmp_eq_u16_sdwa s[4:5], v5, v4 src0_sel:BYTE_0 src1_sel:DWORD
	v_cmp_eq_u16_sdwa s[6:7], v1, v5 src0_sel:BYTE_0 src1_sel:BYTE_0
	v_mov_b32_e32 v4, 1
	v_mov_b32_e32 v5, 1
	ds_write_b8 v0, v3
	s_waitcnt lgkmcnt(0)
	s_barrier
	s_and_saveexec_b64 s[8:9], vcc
	s_cbranch_execz .LBB93_4
; %bb.3:                                ;   in Loop: Header=BB93_2 Depth=1
	ds_read_u8 v5, v2
	s_waitcnt lgkmcnt(0)
	v_cmp_eq_u16_sdwa s[16:17], v5, v1 src0_sel:DWORD src1_sel:BYTE_0
	v_cndmask_b32_e64 v5, 0, 1, s[16:17]
.LBB93_4:                               ;   in Loop: Header=BB93_2 Depth=1
	s_or_b64 exec, exec, s[8:9]
	v_cndmask_b32_e64 v6, 0, 1, s[2:3]
	v_cndmask_b32_e64 v7, 0, 1, s[4:5]
	;; [unrolled: 1-line block ×3, first 2 shown]
	ds_write_b8 v0, v1 offset:256
	s_waitcnt lgkmcnt(0)
	s_barrier
	s_and_saveexec_b64 s[4:5], s[0:1]
	s_cbranch_execz .LBB93_1
; %bb.5:                                ;   in Loop: Header=BB93_2 Depth=1
	ds_read_u8 v4, v0 offset:257
	s_waitcnt lgkmcnt(0)
	v_cmp_eq_u16_e64 s[2:3], v3, v4
	v_cndmask_b32_e64 v4, 0, 1, s[2:3]
	s_branch .LBB93_1
.LBB93_6:
	s_add_u32 s0, s10, s12
	s_addc_u32 s1, s11, 0
	v_mov_b32_e32 v3, s1
	v_add_co_u32_e32 v2, vcc, s0, v0
	v_addc_co_u32_e32 v3, vcc, 0, v3, vcc
	v_lshrrev_b32_e32 v0, 8, v1
	global_store_byte v[2:3], v1, off
	global_store_byte v[2:3], v0, off offset:256
	global_store_byte_d16_hi v[2:3], v1, off offset:512
	v_lshrrev_b32_e32 v0, 24, v1
	global_store_byte v[2:3], v0, off offset:768
	s_endpgm
	.section	.rodata,"a",@progbits
	.p2align	6, 0x0
	.amdhsa_kernel _Z6kernelI20flag_heads_and_tailsaLj256ELj4ELb0ELj100EEvPKT0_PS1_
		.amdhsa_group_segment_fixed_size 512
		.amdhsa_private_segment_fixed_size 0
		.amdhsa_kernarg_size 16
		.amdhsa_user_sgpr_count 6
		.amdhsa_user_sgpr_private_segment_buffer 1
		.amdhsa_user_sgpr_dispatch_ptr 0
		.amdhsa_user_sgpr_queue_ptr 0
		.amdhsa_user_sgpr_kernarg_segment_ptr 1
		.amdhsa_user_sgpr_dispatch_id 0
		.amdhsa_user_sgpr_flat_scratch_init 0
		.amdhsa_user_sgpr_private_segment_size 0
		.amdhsa_uses_dynamic_stack 0
		.amdhsa_system_sgpr_private_segment_wavefront_offset 0
		.amdhsa_system_sgpr_workgroup_id_x 1
		.amdhsa_system_sgpr_workgroup_id_y 0
		.amdhsa_system_sgpr_workgroup_id_z 0
		.amdhsa_system_sgpr_workgroup_info 0
		.amdhsa_system_vgpr_workitem_id 0
		.amdhsa_next_free_vgpr 11
		.amdhsa_next_free_sgpr 18
		.amdhsa_reserve_vcc 1
		.amdhsa_reserve_flat_scratch 0
		.amdhsa_float_round_mode_32 0
		.amdhsa_float_round_mode_16_64 0
		.amdhsa_float_denorm_mode_32 3
		.amdhsa_float_denorm_mode_16_64 3
		.amdhsa_dx10_clamp 1
		.amdhsa_ieee_mode 1
		.amdhsa_fp16_overflow 0
		.amdhsa_exception_fp_ieee_invalid_op 0
		.amdhsa_exception_fp_denorm_src 0
		.amdhsa_exception_fp_ieee_div_zero 0
		.amdhsa_exception_fp_ieee_overflow 0
		.amdhsa_exception_fp_ieee_underflow 0
		.amdhsa_exception_fp_ieee_inexact 0
		.amdhsa_exception_int_div_zero 0
	.end_amdhsa_kernel
	.section	.text._Z6kernelI20flag_heads_and_tailsaLj256ELj4ELb0ELj100EEvPKT0_PS1_,"axG",@progbits,_Z6kernelI20flag_heads_and_tailsaLj256ELj4ELb0ELj100EEvPKT0_PS1_,comdat
.Lfunc_end93:
	.size	_Z6kernelI20flag_heads_and_tailsaLj256ELj4ELb0ELj100EEvPKT0_PS1_, .Lfunc_end93-_Z6kernelI20flag_heads_and_tailsaLj256ELj4ELb0ELj100EEvPKT0_PS1_
                                        ; -- End function
	.set _Z6kernelI20flag_heads_and_tailsaLj256ELj4ELb0ELj100EEvPKT0_PS1_.num_vgpr, 11
	.set _Z6kernelI20flag_heads_and_tailsaLj256ELj4ELb0ELj100EEvPKT0_PS1_.num_agpr, 0
	.set _Z6kernelI20flag_heads_and_tailsaLj256ELj4ELb0ELj100EEvPKT0_PS1_.numbered_sgpr, 18
	.set _Z6kernelI20flag_heads_and_tailsaLj256ELj4ELb0ELj100EEvPKT0_PS1_.num_named_barrier, 0
	.set _Z6kernelI20flag_heads_and_tailsaLj256ELj4ELb0ELj100EEvPKT0_PS1_.private_seg_size, 0
	.set _Z6kernelI20flag_heads_and_tailsaLj256ELj4ELb0ELj100EEvPKT0_PS1_.uses_vcc, 1
	.set _Z6kernelI20flag_heads_and_tailsaLj256ELj4ELb0ELj100EEvPKT0_PS1_.uses_flat_scratch, 0
	.set _Z6kernelI20flag_heads_and_tailsaLj256ELj4ELb0ELj100EEvPKT0_PS1_.has_dyn_sized_stack, 0
	.set _Z6kernelI20flag_heads_and_tailsaLj256ELj4ELb0ELj100EEvPKT0_PS1_.has_recursion, 0
	.set _Z6kernelI20flag_heads_and_tailsaLj256ELj4ELb0ELj100EEvPKT0_PS1_.has_indirect_call, 0
	.section	.AMDGPU.csdata,"",@progbits
; Kernel info:
; codeLenInByte = 464
; TotalNumSgprs: 22
; NumVgprs: 11
; ScratchSize: 0
; MemoryBound: 0
; FloatMode: 240
; IeeeMode: 1
; LDSByteSize: 512 bytes/workgroup (compile time only)
; SGPRBlocks: 2
; VGPRBlocks: 2
; NumSGPRsForWavesPerEU: 22
; NumVGPRsForWavesPerEU: 11
; Occupancy: 10
; WaveLimiterHint : 1
; COMPUTE_PGM_RSRC2:SCRATCH_EN: 0
; COMPUTE_PGM_RSRC2:USER_SGPR: 6
; COMPUTE_PGM_RSRC2:TRAP_HANDLER: 0
; COMPUTE_PGM_RSRC2:TGID_X_EN: 1
; COMPUTE_PGM_RSRC2:TGID_Y_EN: 0
; COMPUTE_PGM_RSRC2:TGID_Z_EN: 0
; COMPUTE_PGM_RSRC2:TIDIG_COMP_CNT: 0
	.section	.text._Z6kernelI20flag_heads_and_tailsaLj256ELj8ELb0ELj100EEvPKT0_PS1_,"axG",@progbits,_Z6kernelI20flag_heads_and_tailsaLj256ELj8ELb0ELj100EEvPKT0_PS1_,comdat
	.protected	_Z6kernelI20flag_heads_and_tailsaLj256ELj8ELb0ELj100EEvPKT0_PS1_ ; -- Begin function _Z6kernelI20flag_heads_and_tailsaLj256ELj8ELb0ELj100EEvPKT0_PS1_
	.globl	_Z6kernelI20flag_heads_and_tailsaLj256ELj8ELb0ELj100EEvPKT0_PS1_
	.p2align	8
	.type	_Z6kernelI20flag_heads_and_tailsaLj256ELj8ELb0ELj100EEvPKT0_PS1_,@function
_Z6kernelI20flag_heads_and_tailsaLj256ELj8ELb0ELj100EEvPKT0_PS1_: ; @_Z6kernelI20flag_heads_and_tailsaLj256ELj8ELb0ELj100EEvPKT0_PS1_
; %bb.0:
	s_load_dwordx4 s[8:11], s[4:5], 0x0
	s_lshl_b32 s6, s6, 11
	s_mov_b32 s2, 0xc0c0004
	s_movk_i32 s7, 0xff
	s_mov_b32 s12, 0x3020104
	s_waitcnt lgkmcnt(0)
	s_add_u32 s0, s8, s6
	s_addc_u32 s1, s9, 0
	global_load_ubyte v1, v0, s[0:1] offset:256
	global_load_ubyte v2, v0, s[0:1] offset:1536
	;; [unrolled: 1-line block ×4, first 2 shown]
	global_load_ubyte v6, v0, s[0:1]
	global_load_ubyte v7, v0, s[0:1] offset:768
	global_load_ubyte v8, v0, s[0:1] offset:1280
	;; [unrolled: 1-line block ×3, first 2 shown]
	s_movk_i32 s8, 0x64
	s_movk_i32 s9, 0x100
	v_cmp_ne_u32_e32 vcc, 0, v0
	v_cmp_ne_u32_e64 s[0:1], s7, v0
	v_add_u32_e32 v3, -1, v0
	s_waitcnt vmcnt(3)
	v_perm_b32 v1, v6, v1, s2
	s_waitcnt vmcnt(2)
	v_perm_b32 v5, v5, v7, s2
	;; [unrolled: 2-line block ×4, first 2 shown]
	v_lshl_or_b32 v5, v5, 16, v1
	v_lshl_or_b32 v6, v2, 16, v4
	v_mov_b32_e32 v4, 8
	s_branch .LBB94_2
.LBB94_1:                               ;   in Loop: Header=BB94_2 Depth=1
	s_or_b64 exec, exec, s[4:5]
	v_lshrrev_b32_e32 v7, 8, v2
	v_lshrrev_b32_e32 v12, 8, v1
	v_lshrrev_b64 v[10:11], 24, v[1:2]
	v_add_u16_e32 v11, v2, v6
	v_add_u16_sdwa v13, v7, v6 dst_sel:DWORD dst_unused:UNUSED_PAD src0_sel:DWORD src1_sel:BYTE_1
	v_add_u16_sdwa v7, v2, v6 dst_sel:DWORD dst_unused:UNUSED_PAD src0_sel:BYTE_3 src1_sel:BYTE_3
	v_add_u16_sdwa v6, v2, v6 dst_sel:DWORD dst_unused:UNUSED_PAD src0_sel:WORD_1 src1_sel:WORD_1
	v_add_u16_e32 v2, v1, v5
	v_add_u16_sdwa v12, v12, v5 dst_sel:DWORD dst_unused:UNUSED_PAD src0_sel:DWORD src1_sel:BYTE_1
	v_add_u16_sdwa v1, v1, v5 dst_sel:DWORD dst_unused:UNUSED_PAD src0_sel:WORD_1 src1_sel:WORD_1
	v_add_u16_sdwa v5, v10, v5 dst_sel:DWORD dst_unused:UNUSED_PAD src0_sel:DWORD src1_sel:BYTE_3
	v_add_u16_sdwa v10, v12, v8 dst_sel:BYTE_1 dst_unused:UNUSED_PAD src0_sel:DWORD src1_sel:BYTE_1
	v_add_u16_e32 v2, v2, v8
	v_or_b32_sdwa v2, v2, v10 dst_sel:DWORD dst_unused:UNUSED_PAD src0_sel:BYTE_0 src1_sel:DWORD
	v_add_u16_sdwa v6, v6, v9 dst_sel:DWORD dst_unused:UNUSED_PAD src0_sel:DWORD src1_sel:WORD_1
	v_add_u16_sdwa v10, v7, v9 dst_sel:BYTE_1 dst_unused:UNUSED_PAD src0_sel:DWORD src1_sel:BYTE_3
	v_add_u16_sdwa v5, v5, v8 dst_sel:BYTE_1 dst_unused:UNUSED_PAD src0_sel:DWORD src1_sel:BYTE_3
	v_add_u16_sdwa v1, v1, v8 dst_sel:DWORD dst_unused:UNUSED_PAD src0_sel:DWORD src1_sel:WORD_1
	v_or_b32_sdwa v7, v6, v10 dst_sel:DWORD dst_unused:UNUSED_PAD src0_sel:BYTE_0 src1_sel:DWORD
	v_add_u16_sdwa v6, v13, v9 dst_sel:BYTE_1 dst_unused:UNUSED_PAD src0_sel:DWORD src1_sel:BYTE_1
	v_add_u16_e32 v8, v11, v9
	v_or_b32_sdwa v8, v8, v6 dst_sel:DWORD dst_unused:UNUSED_PAD src0_sel:BYTE_0 src1_sel:DWORD
	v_or_b32_sdwa v1, v1, v5 dst_sel:DWORD dst_unused:UNUSED_PAD src0_sel:BYTE_0 src1_sel:DWORD
	v_lshrrev_b32_sdwa v6, v4, v10 dst_sel:BYTE_1 dst_unused:UNUSED_PAD src0_sel:DWORD src1_sel:DWORD
	v_lshrrev_b32_sdwa v9, v4, v8 dst_sel:BYTE_1 dst_unused:UNUSED_PAD src0_sel:DWORD src1_sel:WORD_0
	v_lshrrev_b32_sdwa v10, v4, v2 dst_sel:BYTE_1 dst_unused:UNUSED_PAD src0_sel:DWORD src1_sel:WORD_0
	v_lshrrev_b32_sdwa v5, v4, v5 dst_sel:BYTE_1 dst_unused:UNUSED_PAD src0_sel:DWORD src1_sel:DWORD
	v_or_b32_sdwa v10, v2, v10 dst_sel:DWORD dst_unused:UNUSED_PAD src0_sel:BYTE_0 src1_sel:DWORD
	v_or_b32_sdwa v5, v1, v5 dst_sel:WORD_1 dst_unused:UNUSED_PAD src0_sel:BYTE_0 src1_sel:DWORD
	v_or_b32_sdwa v9, v8, v9 dst_sel:DWORD dst_unused:UNUSED_PAD src0_sel:BYTE_0 src1_sel:DWORD
	v_or_b32_sdwa v6, v7, v6 dst_sel:WORD_1 dst_unused:UNUSED_PAD src0_sel:BYTE_0 src1_sel:DWORD
	s_add_i32 s8, s8, -1
	v_or_b32_sdwa v5, v10, v5 dst_sel:DWORD dst_unused:UNUSED_PAD src0_sel:WORD_0 src1_sel:DWORD
	s_cmp_lg_u32 s8, 0
	v_or_b32_sdwa v6, v9, v6 dst_sel:DWORD dst_unused:UNUSED_PAD src0_sel:WORD_0 src1_sel:DWORD
	s_barrier
	s_cbranch_scc0 .LBB94_6
.LBB94_2:                               ; =>This Inner Loop Header: Depth=1
	v_cmp_eq_u16_sdwa s[2:3], v6, v6 src0_sel:BYTE_0 src1_sel:BYTE_1
	v_and_b32_sdwa v1, v6, s7 dst_sel:DWORD dst_unused:UNUSED_PAD src0_sel:WORD_1 src1_sel:DWORD
	v_lshrrev_b32_e32 v7, 24, v6
	v_cndmask_b32_e64 v10, 0, 1, s[2:3]
	v_cmp_eq_u16_sdwa s[2:3], v5, v6 src0_sel:BYTE_3 src1_sel:BYTE_0
	v_lshrrev_b32_e32 v2, 8, v6
	v_lshlrev_b16_e32 v10, 8, v10
	v_cndmask_b32_e64 v11, 0, 1, s[2:3]
	v_cmp_eq_u16_e64 s[2:3], v1, v7
	v_or_b32_e32 v10, v11, v10
	v_cndmask_b32_e64 v11, 0, 1, s[2:3]
	v_cmp_eq_u16_sdwa s[2:3], v2, v1 src0_sel:BYTE_0 src1_sel:DWORD
	v_and_b32_sdwa v8, v5, s7 dst_sel:DWORD dst_unused:UNUSED_PAD src0_sel:WORD_1 src1_sel:DWORD
	v_lshlrev_b16_e32 v11, 8, v11
	v_cndmask_b32_e64 v1, 0, 1, s[2:3]
	v_lshrrev_b32_e32 v9, 8, v5
	v_or_b32_sdwa v1, v1, v11 dst_sel:WORD_1 dst_unused:UNUSED_PAD src0_sel:DWORD src1_sel:DWORD
	v_cmp_eq_u16_sdwa s[2:3], v8, v5 src0_sel:DWORD src1_sel:BYTE_3
	v_or_b32_sdwa v2, v10, v1 dst_sel:DWORD dst_unused:UNUSED_PAD src0_sel:WORD_0 src1_sel:DWORD
	v_cndmask_b32_e64 v10, 0, 1, s[2:3]
	v_cmp_eq_u16_sdwa s[2:3], v9, v8 src0_sel:BYTE_0 src1_sel:DWORD
	v_cndmask_b32_e64 v8, 0, 1, s[2:3]
	v_cmp_eq_u16_sdwa s[2:3], v5, v9 src0_sel:BYTE_0 src1_sel:BYTE_0
	v_cndmask_b32_e64 v9, 0, 1, s[2:3]
	v_lshlrev_b16_e32 v1, 8, v10
	v_or_b32_e32 v11, v8, v1
	v_lshlrev_b16_e32 v12, 8, v9
	v_or_b32_e32 v12, 1, v12
	v_and_b32_e32 v13, 1, v11
	v_lshrrev_b32_sdwa v1, v4, v1 dst_sel:BYTE_1 dst_unused:UNUSED_PAD src0_sel:DWORD src1_sel:DWORD
	v_or_b32_sdwa v1, v13, v1 dst_sel:WORD_1 dst_unused:UNUSED_PAD src0_sel:DWORD src1_sel:DWORD
	v_lshrrev_b32_sdwa v13, v4, v12 dst_sel:BYTE_1 dst_unused:UNUSED_PAD src0_sel:DWORD src1_sel:WORD_0
	v_or_b32_e32 v13, 1, v13
	v_or_b32_sdwa v1, v13, v1 dst_sel:DWORD dst_unused:UNUSED_PAD src0_sel:WORD_0 src1_sel:DWORD
	ds_write_b8 v0, v7
	s_waitcnt lgkmcnt(0)
	s_barrier
	s_and_saveexec_b64 s[2:3], vcc
	s_cbranch_execz .LBB94_4
; %bb.3:                                ;   in Loop: Header=BB94_2 Depth=1
	ds_read_u8 v1, v3
	v_lshlrev_b32_e32 v11, 16, v11
	v_or_b32_sdwa v11, v12, v11 dst_sel:DWORD dst_unused:UNUSED_PAD src0_sel:WORD_0 src1_sel:DWORD
	v_lshrrev_b32_sdwa v12, v4, v11 dst_sel:BYTE_1 dst_unused:UNUSED_PAD src0_sel:DWORD src1_sel:DWORD
	s_waitcnt lgkmcnt(0)
	v_cmp_eq_u16_sdwa s[4:5], v1, v5 src0_sel:DWORD src1_sel:BYTE_0
	v_cndmask_b32_e64 v1, 0, 1, s[4:5]
	v_or_b32_e32 v1, v1, v12
	v_lshrrev_b32_e32 v12, 24, v11
	v_lshlrev_b16_e32 v12, 8, v12
	v_and_b32_sdwa v11, v11, s7 dst_sel:DWORD dst_unused:UNUSED_PAD src0_sel:WORD_1 src1_sel:DWORD
	v_or_b32_sdwa v11, v11, v12 dst_sel:WORD_1 dst_unused:UNUSED_PAD src0_sel:DWORD src1_sel:DWORD
	v_or_b32_sdwa v1, v1, v11 dst_sel:DWORD dst_unused:UNUSED_PAD src0_sel:WORD_0 src1_sel:DWORD
.LBB94_4:                               ;   in Loop: Header=BB94_2 Depth=1
	s_or_b64 exec, exec, s[2:3]
	v_lshrrev_b32_e32 v11, 16, v2
	v_lshlrev_b16_e32 v8, 8, v8
	v_lshlrev_b16_e32 v11, 8, v11
	;; [unrolled: 1-line block ×3, first 2 shown]
	v_or_b32_e32 v13, v9, v8
	v_or_b32_sdwa v11, v2, v11 dst_sel:DWORD dst_unused:UNUSED_PAD src0_sel:BYTE_1 src1_sel:DWORD
	v_or_b32_e32 v10, v10, v14
	v_and_b32_e32 v8, 1, v13
	v_lshrrev_b32_sdwa v15, v4, v13 dst_sel:BYTE_1 dst_unused:UNUSED_PAD src0_sel:DWORD src1_sel:WORD_0
	v_lshrrev_b32_sdwa v9, v4, v11 dst_sel:BYTE_1 dst_unused:UNUSED_PAD src0_sel:DWORD src1_sel:WORD_0
	v_or_b32_e32 v8, v8, v15
	v_and_b32_e32 v15, 1, v10
	v_lshrrev_b32_sdwa v14, v4, v14 dst_sel:BYTE_1 dst_unused:UNUSED_PAD src0_sel:DWORD src1_sel:DWORD
	v_or_b32_sdwa v12, v2, s9 dst_sel:WORD_1 dst_unused:UNUSED_PAD src0_sel:BYTE_3 src1_sel:DWORD
	v_or_b32_sdwa v14, v15, v14 dst_sel:WORD_1 dst_unused:UNUSED_PAD src0_sel:DWORD src1_sel:DWORD
	v_or_b32_sdwa v9, v11, v9 dst_sel:DWORD dst_unused:UNUSED_PAD src0_sel:BYTE_0 src1_sel:DWORD
	v_or_b32_sdwa v8, v8, v14 dst_sel:DWORD dst_unused:UNUSED_PAD src0_sel:WORD_0 src1_sel:DWORD
	v_or_b32_sdwa v9, v9, v12 dst_sel:DWORD dst_unused:UNUSED_PAD src0_sel:WORD_0 src1_sel:DWORD
	ds_write_b8 v0, v5 offset:256
	s_waitcnt lgkmcnt(0)
	s_barrier
	s_and_saveexec_b64 s[4:5], s[0:1]
	s_cbranch_execz .LBB94_1
; %bb.5:                                ;   in Loop: Header=BB94_2 Depth=1
	ds_read_u8 v8, v0 offset:257
	v_lshlrev_b32_e32 v9, 16, v10
	v_or_b32_sdwa v10, v11, v12 dst_sel:DWORD dst_unused:UNUSED_PAD src0_sel:WORD_0 src1_sel:DWORD
	v_or_b32_sdwa v9, v13, v9 dst_sel:DWORD dst_unused:UNUSED_PAD src0_sel:WORD_0 src1_sel:DWORD
	s_waitcnt lgkmcnt(0)
	v_cmp_eq_u16_e64 s[2:3], v7, v8
	v_cndmask_b32_e64 v7, 0, 1, s[2:3]
	v_perm_b32 v8, v9, v9, s12
	v_lshrrev_b32_sdwa v9, v4, v10 dst_sel:BYTE_1 dst_unused:UNUSED_PAD src0_sel:DWORD src1_sel:DWORD
	v_or_b32_sdwa v9, v10, v9 dst_sel:DWORD dst_unused:UNUSED_PAD src0_sel:BYTE_0 src1_sel:DWORD
	v_lshlrev_b16_e32 v7, 8, v7
	v_and_b32_sdwa v10, v10, s7 dst_sel:DWORD dst_unused:UNUSED_PAD src0_sel:WORD_1 src1_sel:DWORD
	v_or_b32_sdwa v7, v10, v7 dst_sel:WORD_1 dst_unused:UNUSED_PAD src0_sel:DWORD src1_sel:DWORD
	v_or_b32_sdwa v9, v9, v7 dst_sel:DWORD dst_unused:UNUSED_PAD src0_sel:WORD_0 src1_sel:DWORD
	s_branch .LBB94_1
.LBB94_6:
	v_lshlrev_b32_e32 v1, 16, v1
	s_add_u32 s0, s10, s6
	v_or_b32_sdwa v2, v2, v1 dst_sel:DWORD dst_unused:UNUSED_PAD src0_sel:WORD_0 src1_sel:DWORD
	v_lshlrev_b32_e32 v1, 16, v7
	s_addc_u32 s1, s11, 0
	v_or_b32_sdwa v3, v8, v1 dst_sel:DWORD dst_unused:UNUSED_PAD src0_sel:WORD_0 src1_sel:DWORD
	v_mov_b32_e32 v1, s1
	v_add_co_u32_e32 v0, vcc, s0, v0
	v_addc_co_u32_e32 v1, vcc, 0, v1, vcc
	v_lshrrev_b32_e32 v4, 8, v2
	global_store_byte v[0:1], v2, off
	global_store_byte v[0:1], v4, off offset:256
	global_store_byte_d16_hi v[0:1], v2, off offset:512
	v_lshrrev_b32_e32 v2, 24, v2
	global_store_byte v[0:1], v2, off offset:768
	global_store_byte v[0:1], v3, off offset:1024
	v_lshrrev_b32_e32 v2, 8, v3
	global_store_byte v[0:1], v2, off offset:1280
	global_store_byte_d16_hi v[0:1], v3, off offset:1536
	v_lshrrev_b32_e32 v2, 24, v3
	global_store_byte v[0:1], v2, off offset:1792
	s_endpgm
	.section	.rodata,"a",@progbits
	.p2align	6, 0x0
	.amdhsa_kernel _Z6kernelI20flag_heads_and_tailsaLj256ELj8ELb0ELj100EEvPKT0_PS1_
		.amdhsa_group_segment_fixed_size 512
		.amdhsa_private_segment_fixed_size 0
		.amdhsa_kernarg_size 16
		.amdhsa_user_sgpr_count 6
		.amdhsa_user_sgpr_private_segment_buffer 1
		.amdhsa_user_sgpr_dispatch_ptr 0
		.amdhsa_user_sgpr_queue_ptr 0
		.amdhsa_user_sgpr_kernarg_segment_ptr 1
		.amdhsa_user_sgpr_dispatch_id 0
		.amdhsa_user_sgpr_flat_scratch_init 0
		.amdhsa_user_sgpr_private_segment_size 0
		.amdhsa_uses_dynamic_stack 0
		.amdhsa_system_sgpr_private_segment_wavefront_offset 0
		.amdhsa_system_sgpr_workgroup_id_x 1
		.amdhsa_system_sgpr_workgroup_id_y 0
		.amdhsa_system_sgpr_workgroup_id_z 0
		.amdhsa_system_sgpr_workgroup_info 0
		.amdhsa_system_vgpr_workitem_id 0
		.amdhsa_next_free_vgpr 16
		.amdhsa_next_free_sgpr 13
		.amdhsa_reserve_vcc 1
		.amdhsa_reserve_flat_scratch 0
		.amdhsa_float_round_mode_32 0
		.amdhsa_float_round_mode_16_64 0
		.amdhsa_float_denorm_mode_32 3
		.amdhsa_float_denorm_mode_16_64 3
		.amdhsa_dx10_clamp 1
		.amdhsa_ieee_mode 1
		.amdhsa_fp16_overflow 0
		.amdhsa_exception_fp_ieee_invalid_op 0
		.amdhsa_exception_fp_denorm_src 0
		.amdhsa_exception_fp_ieee_div_zero 0
		.amdhsa_exception_fp_ieee_overflow 0
		.amdhsa_exception_fp_ieee_underflow 0
		.amdhsa_exception_fp_ieee_inexact 0
		.amdhsa_exception_int_div_zero 0
	.end_amdhsa_kernel
	.section	.text._Z6kernelI20flag_heads_and_tailsaLj256ELj8ELb0ELj100EEvPKT0_PS1_,"axG",@progbits,_Z6kernelI20flag_heads_and_tailsaLj256ELj8ELb0ELj100EEvPKT0_PS1_,comdat
.Lfunc_end94:
	.size	_Z6kernelI20flag_heads_and_tailsaLj256ELj8ELb0ELj100EEvPKT0_PS1_, .Lfunc_end94-_Z6kernelI20flag_heads_and_tailsaLj256ELj8ELb0ELj100EEvPKT0_PS1_
                                        ; -- End function
	.set _Z6kernelI20flag_heads_and_tailsaLj256ELj8ELb0ELj100EEvPKT0_PS1_.num_vgpr, 16
	.set _Z6kernelI20flag_heads_and_tailsaLj256ELj8ELb0ELj100EEvPKT0_PS1_.num_agpr, 0
	.set _Z6kernelI20flag_heads_and_tailsaLj256ELj8ELb0ELj100EEvPKT0_PS1_.numbered_sgpr, 13
	.set _Z6kernelI20flag_heads_and_tailsaLj256ELj8ELb0ELj100EEvPKT0_PS1_.num_named_barrier, 0
	.set _Z6kernelI20flag_heads_and_tailsaLj256ELj8ELb0ELj100EEvPKT0_PS1_.private_seg_size, 0
	.set _Z6kernelI20flag_heads_and_tailsaLj256ELj8ELb0ELj100EEvPKT0_PS1_.uses_vcc, 1
	.set _Z6kernelI20flag_heads_and_tailsaLj256ELj8ELb0ELj100EEvPKT0_PS1_.uses_flat_scratch, 0
	.set _Z6kernelI20flag_heads_and_tailsaLj256ELj8ELb0ELj100EEvPKT0_PS1_.has_dyn_sized_stack, 0
	.set _Z6kernelI20flag_heads_and_tailsaLj256ELj8ELb0ELj100EEvPKT0_PS1_.has_recursion, 0
	.set _Z6kernelI20flag_heads_and_tailsaLj256ELj8ELb0ELj100EEvPKT0_PS1_.has_indirect_call, 0
	.section	.AMDGPU.csdata,"",@progbits
; Kernel info:
; codeLenInByte = 1164
; TotalNumSgprs: 17
; NumVgprs: 16
; ScratchSize: 0
; MemoryBound: 0
; FloatMode: 240
; IeeeMode: 1
; LDSByteSize: 512 bytes/workgroup (compile time only)
; SGPRBlocks: 2
; VGPRBlocks: 3
; NumSGPRsForWavesPerEU: 17
; NumVGPRsForWavesPerEU: 16
; Occupancy: 10
; WaveLimiterHint : 1
; COMPUTE_PGM_RSRC2:SCRATCH_EN: 0
; COMPUTE_PGM_RSRC2:USER_SGPR: 6
; COMPUTE_PGM_RSRC2:TRAP_HANDLER: 0
; COMPUTE_PGM_RSRC2:TGID_X_EN: 1
; COMPUTE_PGM_RSRC2:TGID_Y_EN: 0
; COMPUTE_PGM_RSRC2:TGID_Z_EN: 0
; COMPUTE_PGM_RSRC2:TIDIG_COMP_CNT: 0
	.section	.text._Z6kernelI20flag_heads_and_tailsaLj256ELj1ELb1ELj100EEvPKT0_PS1_,"axG",@progbits,_Z6kernelI20flag_heads_and_tailsaLj256ELj1ELb1ELj100EEvPKT0_PS1_,comdat
	.protected	_Z6kernelI20flag_heads_and_tailsaLj256ELj1ELb1ELj100EEvPKT0_PS1_ ; -- Begin function _Z6kernelI20flag_heads_and_tailsaLj256ELj1ELb1ELj100EEvPKT0_PS1_
	.globl	_Z6kernelI20flag_heads_and_tailsaLj256ELj1ELb1ELj100EEvPKT0_PS1_
	.p2align	8
	.type	_Z6kernelI20flag_heads_and_tailsaLj256ELj1ELb1ELj100EEvPKT0_PS1_,@function
_Z6kernelI20flag_heads_and_tailsaLj256ELj1ELb1ELj100EEvPKT0_PS1_: ; @_Z6kernelI20flag_heads_and_tailsaLj256ELj1ELb1ELj100EEvPKT0_PS1_
; %bb.0:
	s_load_dwordx4 s[0:3], s[4:5], 0x0
	s_lshl_b32 s6, s6, 8
	v_cmp_ne_u32_e32 vcc, 0, v0
	v_add_u32_e32 v2, -1, v0
	s_movk_i32 s7, 0x64
	s_waitcnt lgkmcnt(0)
	s_add_u32 s0, s0, s6
	s_addc_u32 s1, s1, 0
	global_load_ubyte v1, v0, s[0:1]
	s_movk_i32 s0, 0xff
	v_cmp_ne_u32_e64 s[0:1], s0, v0
	s_branch .LBB95_2
.LBB95_1:                               ;   in Loop: Header=BB95_2 Depth=1
	s_or_b64 exec, exec, s[4:5]
	v_cmp_eq_u16_sdwa s[4:5], v3, v1 src0_sel:BYTE_0 src1_sel:BYTE_0
	v_cndmask_b32_e64 v3, 0, 1, s[4:5]
	s_waitcnt lgkmcnt(0)
	v_cmp_eq_u16_sdwa s[4:5], v1, v4 src0_sel:BYTE_0 src1_sel:BYTE_0
	v_cndmask_b32_e64 v4, 0, 1, s[4:5]
	v_add_u16_e32 v1, v1, v3
	s_add_i32 s7, s7, -1
	v_add_u16_e32 v1, v1, v4
	s_cmp_lg_u32 s7, 0
	s_barrier
	s_cbranch_scc0 .LBB95_6
.LBB95_2:                               ; =>This Inner Loop Header: Depth=1
	v_mov_b32_e32 v3, 0x7b
	s_waitcnt vmcnt(0)
	ds_write_b8 v0, v1
	s_waitcnt lgkmcnt(0)
	s_barrier
	s_and_saveexec_b64 s[4:5], vcc
; %bb.3:                                ;   in Loop: Header=BB95_2 Depth=1
	ds_read_u8 v3, v2
; %bb.4:                                ;   in Loop: Header=BB95_2 Depth=1
	s_or_b64 exec, exec, s[4:5]
	v_mov_b32_e32 v4, 0xea
	ds_write_b8 v0, v1 offset:256
	s_waitcnt lgkmcnt(0)
	s_barrier
	s_and_saveexec_b64 s[4:5], s[0:1]
	s_cbranch_execz .LBB95_1
; %bb.5:                                ;   in Loop: Header=BB95_2 Depth=1
	ds_read_u8 v4, v0 offset:257
	s_branch .LBB95_1
.LBB95_6:
	s_add_u32 s0, s2, s6
	s_addc_u32 s1, s3, 0
	v_mov_b32_e32 v3, s1
	v_add_co_u32_e32 v2, vcc, s0, v0
	v_addc_co_u32_e32 v3, vcc, 0, v3, vcc
	global_store_byte v[2:3], v1, off
	s_endpgm
	.section	.rodata,"a",@progbits
	.p2align	6, 0x0
	.amdhsa_kernel _Z6kernelI20flag_heads_and_tailsaLj256ELj1ELb1ELj100EEvPKT0_PS1_
		.amdhsa_group_segment_fixed_size 512
		.amdhsa_private_segment_fixed_size 0
		.amdhsa_kernarg_size 16
		.amdhsa_user_sgpr_count 6
		.amdhsa_user_sgpr_private_segment_buffer 1
		.amdhsa_user_sgpr_dispatch_ptr 0
		.amdhsa_user_sgpr_queue_ptr 0
		.amdhsa_user_sgpr_kernarg_segment_ptr 1
		.amdhsa_user_sgpr_dispatch_id 0
		.amdhsa_user_sgpr_flat_scratch_init 0
		.amdhsa_user_sgpr_private_segment_size 0
		.amdhsa_uses_dynamic_stack 0
		.amdhsa_system_sgpr_private_segment_wavefront_offset 0
		.amdhsa_system_sgpr_workgroup_id_x 1
		.amdhsa_system_sgpr_workgroup_id_y 0
		.amdhsa_system_sgpr_workgroup_id_z 0
		.amdhsa_system_sgpr_workgroup_info 0
		.amdhsa_system_vgpr_workitem_id 0
		.amdhsa_next_free_vgpr 5
		.amdhsa_next_free_sgpr 8
		.amdhsa_reserve_vcc 1
		.amdhsa_reserve_flat_scratch 0
		.amdhsa_float_round_mode_32 0
		.amdhsa_float_round_mode_16_64 0
		.amdhsa_float_denorm_mode_32 3
		.amdhsa_float_denorm_mode_16_64 3
		.amdhsa_dx10_clamp 1
		.amdhsa_ieee_mode 1
		.amdhsa_fp16_overflow 0
		.amdhsa_exception_fp_ieee_invalid_op 0
		.amdhsa_exception_fp_denorm_src 0
		.amdhsa_exception_fp_ieee_div_zero 0
		.amdhsa_exception_fp_ieee_overflow 0
		.amdhsa_exception_fp_ieee_underflow 0
		.amdhsa_exception_fp_ieee_inexact 0
		.amdhsa_exception_int_div_zero 0
	.end_amdhsa_kernel
	.section	.text._Z6kernelI20flag_heads_and_tailsaLj256ELj1ELb1ELj100EEvPKT0_PS1_,"axG",@progbits,_Z6kernelI20flag_heads_and_tailsaLj256ELj1ELb1ELj100EEvPKT0_PS1_,comdat
.Lfunc_end95:
	.size	_Z6kernelI20flag_heads_and_tailsaLj256ELj1ELb1ELj100EEvPKT0_PS1_, .Lfunc_end95-_Z6kernelI20flag_heads_and_tailsaLj256ELj1ELb1ELj100EEvPKT0_PS1_
                                        ; -- End function
	.set _Z6kernelI20flag_heads_and_tailsaLj256ELj1ELb1ELj100EEvPKT0_PS1_.num_vgpr, 5
	.set _Z6kernelI20flag_heads_and_tailsaLj256ELj1ELb1ELj100EEvPKT0_PS1_.num_agpr, 0
	.set _Z6kernelI20flag_heads_and_tailsaLj256ELj1ELb1ELj100EEvPKT0_PS1_.numbered_sgpr, 8
	.set _Z6kernelI20flag_heads_and_tailsaLj256ELj1ELb1ELj100EEvPKT0_PS1_.num_named_barrier, 0
	.set _Z6kernelI20flag_heads_and_tailsaLj256ELj1ELb1ELj100EEvPKT0_PS1_.private_seg_size, 0
	.set _Z6kernelI20flag_heads_and_tailsaLj256ELj1ELb1ELj100EEvPKT0_PS1_.uses_vcc, 1
	.set _Z6kernelI20flag_heads_and_tailsaLj256ELj1ELb1ELj100EEvPKT0_PS1_.uses_flat_scratch, 0
	.set _Z6kernelI20flag_heads_and_tailsaLj256ELj1ELb1ELj100EEvPKT0_PS1_.has_dyn_sized_stack, 0
	.set _Z6kernelI20flag_heads_and_tailsaLj256ELj1ELb1ELj100EEvPKT0_PS1_.has_recursion, 0
	.set _Z6kernelI20flag_heads_and_tailsaLj256ELj1ELb1ELj100EEvPKT0_PS1_.has_indirect_call, 0
	.section	.AMDGPU.csdata,"",@progbits
; Kernel info:
; codeLenInByte = 244
; TotalNumSgprs: 12
; NumVgprs: 5
; ScratchSize: 0
; MemoryBound: 0
; FloatMode: 240
; IeeeMode: 1
; LDSByteSize: 512 bytes/workgroup (compile time only)
; SGPRBlocks: 1
; VGPRBlocks: 1
; NumSGPRsForWavesPerEU: 12
; NumVGPRsForWavesPerEU: 5
; Occupancy: 10
; WaveLimiterHint : 0
; COMPUTE_PGM_RSRC2:SCRATCH_EN: 0
; COMPUTE_PGM_RSRC2:USER_SGPR: 6
; COMPUTE_PGM_RSRC2:TRAP_HANDLER: 0
; COMPUTE_PGM_RSRC2:TGID_X_EN: 1
; COMPUTE_PGM_RSRC2:TGID_Y_EN: 0
; COMPUTE_PGM_RSRC2:TGID_Z_EN: 0
; COMPUTE_PGM_RSRC2:TIDIG_COMP_CNT: 0
	.section	.text._Z6kernelI20flag_heads_and_tailsaLj256ELj2ELb1ELj100EEvPKT0_PS1_,"axG",@progbits,_Z6kernelI20flag_heads_and_tailsaLj256ELj2ELb1ELj100EEvPKT0_PS1_,comdat
	.protected	_Z6kernelI20flag_heads_and_tailsaLj256ELj2ELb1ELj100EEvPKT0_PS1_ ; -- Begin function _Z6kernelI20flag_heads_and_tailsaLj256ELj2ELb1ELj100EEvPKT0_PS1_
	.globl	_Z6kernelI20flag_heads_and_tailsaLj256ELj2ELb1ELj100EEvPKT0_PS1_
	.p2align	8
	.type	_Z6kernelI20flag_heads_and_tailsaLj256ELj2ELb1ELj100EEvPKT0_PS1_,@function
_Z6kernelI20flag_heads_and_tailsaLj256ELj2ELb1ELj100EEvPKT0_PS1_: ; @_Z6kernelI20flag_heads_and_tailsaLj256ELj2ELb1ELj100EEvPKT0_PS1_
; %bb.0:
	s_load_dwordx4 s[0:3], s[4:5], 0x0
	s_lshl_b32 s6, s6, 9
	s_mov_b32 s4, 0xc0c0004
	v_cmp_ne_u32_e32 vcc, 0, v0
	v_add_u32_e32 v1, -1, v0
	s_waitcnt lgkmcnt(0)
	s_add_u32 s0, s0, s6
	s_addc_u32 s1, s1, 0
	global_load_ubyte v2, v0, s[0:1] offset:256
	global_load_ubyte v3, v0, s[0:1]
	s_movk_i32 s0, 0xff
	v_cmp_ne_u32_e64 s[0:1], s0, v0
	s_movk_i32 s7, 0x64
	s_waitcnt vmcnt(0)
	v_perm_b32 v2, v3, v2, s4
	s_branch .LBB96_2
.LBB96_1:                               ;   in Loop: Header=BB96_2 Depth=1
	s_or_b64 exec, exec, s[4:5]
	v_cmp_eq_u16_sdwa s[4:5], v4, v2 src0_sel:BYTE_0 src1_sel:BYTE_0
	v_cndmask_b32_e64 v4, 0, 1, s[4:5]
	v_cmp_eq_u16_sdwa s[4:5], v2, v3 src0_sel:BYTE_0 src1_sel:DWORD
	v_cndmask_b32_e64 v6, 0, 1, s[4:5]
	s_waitcnt lgkmcnt(0)
	v_cmp_eq_u16_sdwa s[4:5], v3, v5 src0_sel:DWORD src1_sel:BYTE_0
	v_add_u16_e32 v2, v2, v6
	v_cndmask_b32_e64 v5, 0, 1, s[4:5]
	v_add_u16_e32 v4, v2, v4
	v_add_u16_e32 v2, v3, v6
	;; [unrolled: 1-line block ×3, first 2 shown]
	v_lshlrev_b16_e32 v2, 8, v3
	v_or_b32_sdwa v2, v4, v2 dst_sel:DWORD dst_unused:UNUSED_PAD src0_sel:BYTE_0 src1_sel:DWORD
	s_add_i32 s7, s7, -1
	v_and_b32_e32 v2, 0xffff, v2
	s_cmp_lg_u32 s7, 0
	s_barrier
	s_cbranch_scc0 .LBB96_6
.LBB96_2:                               ; =>This Inner Loop Header: Depth=1
	v_lshrrev_b16_e32 v3, 8, v2
	v_mov_b32_e32 v4, 0x7b
	ds_write_b8 v0, v3
	s_waitcnt lgkmcnt(0)
	s_barrier
	s_and_saveexec_b64 s[4:5], vcc
; %bb.3:                                ;   in Loop: Header=BB96_2 Depth=1
	ds_read_u8 v4, v1
; %bb.4:                                ;   in Loop: Header=BB96_2 Depth=1
	s_or_b64 exec, exec, s[4:5]
	v_mov_b32_e32 v5, 0xea
	ds_write_b8 v0, v2 offset:256
	s_waitcnt lgkmcnt(0)
	s_barrier
	s_and_saveexec_b64 s[4:5], s[0:1]
	s_cbranch_execz .LBB96_1
; %bb.5:                                ;   in Loop: Header=BB96_2 Depth=1
	ds_read_u8 v5, v0 offset:257
	s_branch .LBB96_1
.LBB96_6:
	s_add_u32 s0, s2, s6
	s_addc_u32 s1, s3, 0
	v_mov_b32_e32 v1, s1
	v_add_co_u32_e32 v0, vcc, s0, v0
	v_addc_co_u32_e32 v1, vcc, 0, v1, vcc
	global_store_byte v[0:1], v4, off
	global_store_byte v[0:1], v3, off offset:256
	s_endpgm
	.section	.rodata,"a",@progbits
	.p2align	6, 0x0
	.amdhsa_kernel _Z6kernelI20flag_heads_and_tailsaLj256ELj2ELb1ELj100EEvPKT0_PS1_
		.amdhsa_group_segment_fixed_size 512
		.amdhsa_private_segment_fixed_size 0
		.amdhsa_kernarg_size 16
		.amdhsa_user_sgpr_count 6
		.amdhsa_user_sgpr_private_segment_buffer 1
		.amdhsa_user_sgpr_dispatch_ptr 0
		.amdhsa_user_sgpr_queue_ptr 0
		.amdhsa_user_sgpr_kernarg_segment_ptr 1
		.amdhsa_user_sgpr_dispatch_id 0
		.amdhsa_user_sgpr_flat_scratch_init 0
		.amdhsa_user_sgpr_private_segment_size 0
		.amdhsa_uses_dynamic_stack 0
		.amdhsa_system_sgpr_private_segment_wavefront_offset 0
		.amdhsa_system_sgpr_workgroup_id_x 1
		.amdhsa_system_sgpr_workgroup_id_y 0
		.amdhsa_system_sgpr_workgroup_id_z 0
		.amdhsa_system_sgpr_workgroup_info 0
		.amdhsa_system_vgpr_workitem_id 0
		.amdhsa_next_free_vgpr 7
		.amdhsa_next_free_sgpr 8
		.amdhsa_reserve_vcc 1
		.amdhsa_reserve_flat_scratch 0
		.amdhsa_float_round_mode_32 0
		.amdhsa_float_round_mode_16_64 0
		.amdhsa_float_denorm_mode_32 3
		.amdhsa_float_denorm_mode_16_64 3
		.amdhsa_dx10_clamp 1
		.amdhsa_ieee_mode 1
		.amdhsa_fp16_overflow 0
		.amdhsa_exception_fp_ieee_invalid_op 0
		.amdhsa_exception_fp_denorm_src 0
		.amdhsa_exception_fp_ieee_div_zero 0
		.amdhsa_exception_fp_ieee_overflow 0
		.amdhsa_exception_fp_ieee_underflow 0
		.amdhsa_exception_fp_ieee_inexact 0
		.amdhsa_exception_int_div_zero 0
	.end_amdhsa_kernel
	.section	.text._Z6kernelI20flag_heads_and_tailsaLj256ELj2ELb1ELj100EEvPKT0_PS1_,"axG",@progbits,_Z6kernelI20flag_heads_and_tailsaLj256ELj2ELb1ELj100EEvPKT0_PS1_,comdat
.Lfunc_end96:
	.size	_Z6kernelI20flag_heads_and_tailsaLj256ELj2ELb1ELj100EEvPKT0_PS1_, .Lfunc_end96-_Z6kernelI20flag_heads_and_tailsaLj256ELj2ELb1ELj100EEvPKT0_PS1_
                                        ; -- End function
	.set _Z6kernelI20flag_heads_and_tailsaLj256ELj2ELb1ELj100EEvPKT0_PS1_.num_vgpr, 7
	.set _Z6kernelI20flag_heads_and_tailsaLj256ELj2ELb1ELj100EEvPKT0_PS1_.num_agpr, 0
	.set _Z6kernelI20flag_heads_and_tailsaLj256ELj2ELb1ELj100EEvPKT0_PS1_.numbered_sgpr, 8
	.set _Z6kernelI20flag_heads_and_tailsaLj256ELj2ELb1ELj100EEvPKT0_PS1_.num_named_barrier, 0
	.set _Z6kernelI20flag_heads_and_tailsaLj256ELj2ELb1ELj100EEvPKT0_PS1_.private_seg_size, 0
	.set _Z6kernelI20flag_heads_and_tailsaLj256ELj2ELb1ELj100EEvPKT0_PS1_.uses_vcc, 1
	.set _Z6kernelI20flag_heads_and_tailsaLj256ELj2ELb1ELj100EEvPKT0_PS1_.uses_flat_scratch, 0
	.set _Z6kernelI20flag_heads_and_tailsaLj256ELj2ELb1ELj100EEvPKT0_PS1_.has_dyn_sized_stack, 0
	.set _Z6kernelI20flag_heads_and_tailsaLj256ELj2ELb1ELj100EEvPKT0_PS1_.has_recursion, 0
	.set _Z6kernelI20flag_heads_and_tailsaLj256ELj2ELb1ELj100EEvPKT0_PS1_.has_indirect_call, 0
	.section	.AMDGPU.csdata,"",@progbits
; Kernel info:
; codeLenInByte = 324
; TotalNumSgprs: 12
; NumVgprs: 7
; ScratchSize: 0
; MemoryBound: 0
; FloatMode: 240
; IeeeMode: 1
; LDSByteSize: 512 bytes/workgroup (compile time only)
; SGPRBlocks: 1
; VGPRBlocks: 1
; NumSGPRsForWavesPerEU: 12
; NumVGPRsForWavesPerEU: 7
; Occupancy: 10
; WaveLimiterHint : 1
; COMPUTE_PGM_RSRC2:SCRATCH_EN: 0
; COMPUTE_PGM_RSRC2:USER_SGPR: 6
; COMPUTE_PGM_RSRC2:TRAP_HANDLER: 0
; COMPUTE_PGM_RSRC2:TGID_X_EN: 1
; COMPUTE_PGM_RSRC2:TGID_Y_EN: 0
; COMPUTE_PGM_RSRC2:TGID_Z_EN: 0
; COMPUTE_PGM_RSRC2:TIDIG_COMP_CNT: 0
	.section	.text._Z6kernelI20flag_heads_and_tailsaLj256ELj3ELb1ELj100EEvPKT0_PS1_,"axG",@progbits,_Z6kernelI20flag_heads_and_tailsaLj256ELj3ELb1ELj100EEvPKT0_PS1_,comdat
	.protected	_Z6kernelI20flag_heads_and_tailsaLj256ELj3ELb1ELj100EEvPKT0_PS1_ ; -- Begin function _Z6kernelI20flag_heads_and_tailsaLj256ELj3ELb1ELj100EEvPKT0_PS1_
	.globl	_Z6kernelI20flag_heads_and_tailsaLj256ELj3ELb1ELj100EEvPKT0_PS1_
	.p2align	8
	.type	_Z6kernelI20flag_heads_and_tailsaLj256ELj3ELb1ELj100EEvPKT0_PS1_,@function
_Z6kernelI20flag_heads_and_tailsaLj256ELj3ELb1ELj100EEvPKT0_PS1_: ; @_Z6kernelI20flag_heads_and_tailsaLj256ELj3ELb1ELj100EEvPKT0_PS1_
; %bb.0:
	s_load_dwordx4 s[0:3], s[4:5], 0x0
	s_mulk_i32 s6, 0x300
	s_mov_b32 s4, 0xc0c0004
	v_cmp_ne_u32_e32 vcc, 0, v0
	v_add_u32_e32 v1, -1, v0
	s_waitcnt lgkmcnt(0)
	s_add_u32 s0, s0, s6
	s_addc_u32 s1, s1, 0
	global_load_ubyte v2, v0, s[0:1] offset:256
	global_load_ubyte v3, v0, s[0:1] offset:512
	global_load_ubyte v4, v0, s[0:1]
	s_movk_i32 s0, 0xff
	v_cmp_ne_u32_e64 s[0:1], s0, v0
	s_movk_i32 s7, 0x64
	s_waitcnt vmcnt(0)
	v_perm_b32 v2, v4, v2, s4
	v_lshl_or_b32 v2, v3, 16, v2
	s_branch .LBB97_2
.LBB97_1:                               ;   in Loop: Header=BB97_2 Depth=1
	s_or_b64 exec, exec, s[4:5]
	v_cmp_eq_u16_sdwa s[4:5], v4, v2 src0_sel:BYTE_0 src1_sel:BYTE_0
	v_lshrrev_b32_e32 v6, 8, v2
	v_cndmask_b32_e64 v4, 0, 1, s[4:5]
	v_cmp_eq_u16_sdwa s[4:5], v6, v3 src0_sel:BYTE_0 src1_sel:BYTE_0
	v_cndmask_b32_e64 v7, 0, 1, s[4:5]
	v_cmp_eq_u16_sdwa s[4:5], v2, v6 src0_sel:BYTE_0 src1_sel:BYTE_0
	v_cndmask_b32_e64 v8, 0, 1, s[4:5]
	v_add_u16_e32 v2, v2, v8
	s_waitcnt lgkmcnt(0)
	v_cmp_eq_u16_sdwa s[4:5], v3, v5 src0_sel:BYTE_0 src1_sel:BYTE_0
	v_add_u16_e32 v4, v2, v4
	v_add_u16_e32 v2, v6, v8
	v_cndmask_b32_e64 v9, 0, 1, s[4:5]
	v_add_u16_e32 v5, v2, v7
	v_add_u16_e32 v2, v3, v7
	;; [unrolled: 1-line block ×3, first 2 shown]
	v_lshlrev_b16_e32 v2, 8, v5
	v_and_b32_e32 v6, 0xff, v3
	v_or_b32_sdwa v2, v4, v2 dst_sel:DWORD dst_unused:UNUSED_PAD src0_sel:BYTE_0 src1_sel:DWORD
	v_lshlrev_b32_e32 v6, 16, v6
	s_add_i32 s7, s7, -1
	v_or_b32_sdwa v2, v2, v6 dst_sel:DWORD dst_unused:UNUSED_PAD src0_sel:WORD_0 src1_sel:DWORD
	s_cmp_lg_u32 s7, 0
	s_barrier
	s_cbranch_scc0 .LBB97_6
.LBB97_2:                               ; =>This Inner Loop Header: Depth=1
	v_lshrrev_b32_e32 v3, 16, v2
	v_mov_b32_e32 v4, 0x7b
	ds_write_b8 v0, v3
	s_waitcnt lgkmcnt(0)
	s_barrier
	s_and_saveexec_b64 s[4:5], vcc
; %bb.3:                                ;   in Loop: Header=BB97_2 Depth=1
	ds_read_u8 v4, v1
; %bb.4:                                ;   in Loop: Header=BB97_2 Depth=1
	s_or_b64 exec, exec, s[4:5]
	v_mov_b32_e32 v5, 0xea
	ds_write_b8 v0, v2 offset:256
	s_waitcnt lgkmcnt(0)
	s_barrier
	s_and_saveexec_b64 s[4:5], s[0:1]
	s_cbranch_execz .LBB97_1
; %bb.5:                                ;   in Loop: Header=BB97_2 Depth=1
	ds_read_u8 v5, v0 offset:257
	s_branch .LBB97_1
.LBB97_6:
	s_add_u32 s0, s2, s6
	s_addc_u32 s1, s3, 0
	v_mov_b32_e32 v1, s1
	v_add_co_u32_e32 v0, vcc, s0, v0
	v_addc_co_u32_e32 v1, vcc, 0, v1, vcc
	global_store_byte v[0:1], v4, off
	global_store_byte v[0:1], v5, off offset:256
	global_store_byte v[0:1], v3, off offset:512
	s_endpgm
	.section	.rodata,"a",@progbits
	.p2align	6, 0x0
	.amdhsa_kernel _Z6kernelI20flag_heads_and_tailsaLj256ELj3ELb1ELj100EEvPKT0_PS1_
		.amdhsa_group_segment_fixed_size 512
		.amdhsa_private_segment_fixed_size 0
		.amdhsa_kernarg_size 16
		.amdhsa_user_sgpr_count 6
		.amdhsa_user_sgpr_private_segment_buffer 1
		.amdhsa_user_sgpr_dispatch_ptr 0
		.amdhsa_user_sgpr_queue_ptr 0
		.amdhsa_user_sgpr_kernarg_segment_ptr 1
		.amdhsa_user_sgpr_dispatch_id 0
		.amdhsa_user_sgpr_flat_scratch_init 0
		.amdhsa_user_sgpr_private_segment_size 0
		.amdhsa_uses_dynamic_stack 0
		.amdhsa_system_sgpr_private_segment_wavefront_offset 0
		.amdhsa_system_sgpr_workgroup_id_x 1
		.amdhsa_system_sgpr_workgroup_id_y 0
		.amdhsa_system_sgpr_workgroup_id_z 0
		.amdhsa_system_sgpr_workgroup_info 0
		.amdhsa_system_vgpr_workitem_id 0
		.amdhsa_next_free_vgpr 10
		.amdhsa_next_free_sgpr 8
		.amdhsa_reserve_vcc 1
		.amdhsa_reserve_flat_scratch 0
		.amdhsa_float_round_mode_32 0
		.amdhsa_float_round_mode_16_64 0
		.amdhsa_float_denorm_mode_32 3
		.amdhsa_float_denorm_mode_16_64 3
		.amdhsa_dx10_clamp 1
		.amdhsa_ieee_mode 1
		.amdhsa_fp16_overflow 0
		.amdhsa_exception_fp_ieee_invalid_op 0
		.amdhsa_exception_fp_denorm_src 0
		.amdhsa_exception_fp_ieee_div_zero 0
		.amdhsa_exception_fp_ieee_overflow 0
		.amdhsa_exception_fp_ieee_underflow 0
		.amdhsa_exception_fp_ieee_inexact 0
		.amdhsa_exception_int_div_zero 0
	.end_amdhsa_kernel
	.section	.text._Z6kernelI20flag_heads_and_tailsaLj256ELj3ELb1ELj100EEvPKT0_PS1_,"axG",@progbits,_Z6kernelI20flag_heads_and_tailsaLj256ELj3ELb1ELj100EEvPKT0_PS1_,comdat
.Lfunc_end97:
	.size	_Z6kernelI20flag_heads_and_tailsaLj256ELj3ELb1ELj100EEvPKT0_PS1_, .Lfunc_end97-_Z6kernelI20flag_heads_and_tailsaLj256ELj3ELb1ELj100EEvPKT0_PS1_
                                        ; -- End function
	.set _Z6kernelI20flag_heads_and_tailsaLj256ELj3ELb1ELj100EEvPKT0_PS1_.num_vgpr, 10
	.set _Z6kernelI20flag_heads_and_tailsaLj256ELj3ELb1ELj100EEvPKT0_PS1_.num_agpr, 0
	.set _Z6kernelI20flag_heads_and_tailsaLj256ELj3ELb1ELj100EEvPKT0_PS1_.numbered_sgpr, 8
	.set _Z6kernelI20flag_heads_and_tailsaLj256ELj3ELb1ELj100EEvPKT0_PS1_.num_named_barrier, 0
	.set _Z6kernelI20flag_heads_and_tailsaLj256ELj3ELb1ELj100EEvPKT0_PS1_.private_seg_size, 0
	.set _Z6kernelI20flag_heads_and_tailsaLj256ELj3ELb1ELj100EEvPKT0_PS1_.uses_vcc, 1
	.set _Z6kernelI20flag_heads_and_tailsaLj256ELj3ELb1ELj100EEvPKT0_PS1_.uses_flat_scratch, 0
	.set _Z6kernelI20flag_heads_and_tailsaLj256ELj3ELb1ELj100EEvPKT0_PS1_.has_dyn_sized_stack, 0
	.set _Z6kernelI20flag_heads_and_tailsaLj256ELj3ELb1ELj100EEvPKT0_PS1_.has_recursion, 0
	.set _Z6kernelI20flag_heads_and_tailsaLj256ELj3ELb1ELj100EEvPKT0_PS1_.has_indirect_call, 0
	.section	.AMDGPU.csdata,"",@progbits
; Kernel info:
; codeLenInByte = 388
; TotalNumSgprs: 12
; NumVgprs: 10
; ScratchSize: 0
; MemoryBound: 0
; FloatMode: 240
; IeeeMode: 1
; LDSByteSize: 512 bytes/workgroup (compile time only)
; SGPRBlocks: 1
; VGPRBlocks: 2
; NumSGPRsForWavesPerEU: 12
; NumVGPRsForWavesPerEU: 10
; Occupancy: 10
; WaveLimiterHint : 1
; COMPUTE_PGM_RSRC2:SCRATCH_EN: 0
; COMPUTE_PGM_RSRC2:USER_SGPR: 6
; COMPUTE_PGM_RSRC2:TRAP_HANDLER: 0
; COMPUTE_PGM_RSRC2:TGID_X_EN: 1
; COMPUTE_PGM_RSRC2:TGID_Y_EN: 0
; COMPUTE_PGM_RSRC2:TGID_Z_EN: 0
; COMPUTE_PGM_RSRC2:TIDIG_COMP_CNT: 0
	.section	.text._Z6kernelI20flag_heads_and_tailsaLj256ELj4ELb1ELj100EEvPKT0_PS1_,"axG",@progbits,_Z6kernelI20flag_heads_and_tailsaLj256ELj4ELb1ELj100EEvPKT0_PS1_,comdat
	.protected	_Z6kernelI20flag_heads_and_tailsaLj256ELj4ELb1ELj100EEvPKT0_PS1_ ; -- Begin function _Z6kernelI20flag_heads_and_tailsaLj256ELj4ELb1ELj100EEvPKT0_PS1_
	.globl	_Z6kernelI20flag_heads_and_tailsaLj256ELj4ELb1ELj100EEvPKT0_PS1_
	.p2align	8
	.type	_Z6kernelI20flag_heads_and_tailsaLj256ELj4ELb1ELj100EEvPKT0_PS1_,@function
_Z6kernelI20flag_heads_and_tailsaLj256ELj4ELb1ELj100EEvPKT0_PS1_: ; @_Z6kernelI20flag_heads_and_tailsaLj256ELj4ELb1ELj100EEvPKT0_PS1_
; %bb.0:
	s_load_dwordx4 s[8:11], s[4:5], 0x0
	s_lshl_b32 s4, s6, 10
	s_mov_b32 s2, 0xc0c0004
	s_movk_i32 s5, 0xff
	v_cmp_ne_u32_e32 vcc, 0, v0
	s_waitcnt lgkmcnt(0)
	s_add_u32 s0, s8, s4
	s_addc_u32 s1, s9, 0
	global_load_ubyte v2, v0, s[0:1] offset:256
	global_load_ubyte v3, v0, s[0:1] offset:512
	global_load_ubyte v4, v0, s[0:1]
	global_load_ubyte v5, v0, s[0:1] offset:768
	v_cmp_ne_u32_e64 s[0:1], s5, v0
	v_add_u32_e32 v1, -1, v0
	s_movk_i32 s6, 0x64
	s_waitcnt vmcnt(1)
	v_perm_b32 v2, v4, v2, s2
	s_waitcnt vmcnt(0)
	v_perm_b32 v3, v3, v5, s2
	v_lshl_or_b32 v2, v3, 16, v2
	s_branch .LBB98_2
.LBB98_1:                               ;   in Loop: Header=BB98_2 Depth=1
	s_or_b64 exec, exec, s[2:3]
	v_cmp_eq_u16_sdwa s[2:3], v4, v2 src0_sel:BYTE_0 src1_sel:BYTE_0
	v_and_b32_sdwa v7, v2, s5 dst_sel:DWORD dst_unused:UNUSED_PAD src0_sel:WORD_1 src1_sel:DWORD
	v_cndmask_b32_e64 v4, 0, 1, s[2:3]
	v_lshrrev_b32_e32 v6, 8, v2
	v_cmp_eq_u16_e64 s[2:3], v7, v3
	v_cndmask_b32_e64 v8, 0, 1, s[2:3]
	v_cmp_eq_u16_sdwa s[2:3], v6, v7 src0_sel:BYTE_0 src1_sel:DWORD
	v_cndmask_b32_e64 v7, 0, 1, s[2:3]
	v_cmp_eq_u16_sdwa s[2:3], v2, v6 src0_sel:BYTE_0 src1_sel:BYTE_0
	v_cndmask_b32_e64 v9, 0, 1, s[2:3]
	s_waitcnt lgkmcnt(0)
	v_cmp_eq_u16_sdwa s[2:3], v3, v5 src0_sel:DWORD src1_sel:BYTE_0
	v_add_u16_e32 v5, v2, v9
	v_add_u16_sdwa v2, v2, v7 dst_sel:DWORD dst_unused:UNUSED_PAD src0_sel:WORD_1 src1_sel:DWORD
	v_cndmask_b32_e64 v10, 0, 1, s[2:3]
	v_add_u16_e32 v4, v5, v4
	v_add_u16_e32 v5, v6, v9
	v_add_u16_e32 v6, v2, v8
	v_add_u16_e32 v2, v3, v8
	v_add_u16_e32 v5, v5, v7
	v_add_u16_e32 v3, v2, v10
	v_lshlrev_b16_e32 v2, 8, v5
	v_lshlrev_b16_e32 v7, 8, v3
	v_or_b32_sdwa v2, v4, v2 dst_sel:DWORD dst_unused:UNUSED_PAD src0_sel:BYTE_0 src1_sel:DWORD
	v_or_b32_sdwa v7, v6, v7 dst_sel:WORD_1 dst_unused:UNUSED_PAD src0_sel:BYTE_0 src1_sel:DWORD
	s_add_i32 s6, s6, -1
	v_or_b32_sdwa v2, v2, v7 dst_sel:DWORD dst_unused:UNUSED_PAD src0_sel:WORD_0 src1_sel:DWORD
	s_cmp_lg_u32 s6, 0
	s_barrier
	s_cbranch_scc0 .LBB98_6
.LBB98_2:                               ; =>This Inner Loop Header: Depth=1
	v_lshrrev_b32_e32 v3, 24, v2
	v_mov_b32_e32 v4, 0x7b
	ds_write_b8 v0, v3
	s_waitcnt lgkmcnt(0)
	s_barrier
	s_and_saveexec_b64 s[2:3], vcc
; %bb.3:                                ;   in Loop: Header=BB98_2 Depth=1
	ds_read_u8 v4, v1
; %bb.4:                                ;   in Loop: Header=BB98_2 Depth=1
	s_or_b64 exec, exec, s[2:3]
	v_mov_b32_e32 v5, 0xea
	ds_write_b8 v0, v2 offset:256
	s_waitcnt lgkmcnt(0)
	s_barrier
	s_and_saveexec_b64 s[2:3], s[0:1]
	s_cbranch_execz .LBB98_1
; %bb.5:                                ;   in Loop: Header=BB98_2 Depth=1
	ds_read_u8 v5, v0 offset:257
	s_branch .LBB98_1
.LBB98_6:
	s_add_u32 s0, s10, s4
	s_addc_u32 s1, s11, 0
	v_mov_b32_e32 v1, s1
	v_add_co_u32_e32 v0, vcc, s0, v0
	v_addc_co_u32_e32 v1, vcc, 0, v1, vcc
	global_store_byte v[0:1], v4, off
	global_store_byte v[0:1], v5, off offset:256
	global_store_byte v[0:1], v6, off offset:512
	;; [unrolled: 1-line block ×3, first 2 shown]
	s_endpgm
	.section	.rodata,"a",@progbits
	.p2align	6, 0x0
	.amdhsa_kernel _Z6kernelI20flag_heads_and_tailsaLj256ELj4ELb1ELj100EEvPKT0_PS1_
		.amdhsa_group_segment_fixed_size 512
		.amdhsa_private_segment_fixed_size 0
		.amdhsa_kernarg_size 16
		.amdhsa_user_sgpr_count 6
		.amdhsa_user_sgpr_private_segment_buffer 1
		.amdhsa_user_sgpr_dispatch_ptr 0
		.amdhsa_user_sgpr_queue_ptr 0
		.amdhsa_user_sgpr_kernarg_segment_ptr 1
		.amdhsa_user_sgpr_dispatch_id 0
		.amdhsa_user_sgpr_flat_scratch_init 0
		.amdhsa_user_sgpr_private_segment_size 0
		.amdhsa_uses_dynamic_stack 0
		.amdhsa_system_sgpr_private_segment_wavefront_offset 0
		.amdhsa_system_sgpr_workgroup_id_x 1
		.amdhsa_system_sgpr_workgroup_id_y 0
		.amdhsa_system_sgpr_workgroup_id_z 0
		.amdhsa_system_sgpr_workgroup_info 0
		.amdhsa_system_vgpr_workitem_id 0
		.amdhsa_next_free_vgpr 11
		.amdhsa_next_free_sgpr 12
		.amdhsa_reserve_vcc 1
		.amdhsa_reserve_flat_scratch 0
		.amdhsa_float_round_mode_32 0
		.amdhsa_float_round_mode_16_64 0
		.amdhsa_float_denorm_mode_32 3
		.amdhsa_float_denorm_mode_16_64 3
		.amdhsa_dx10_clamp 1
		.amdhsa_ieee_mode 1
		.amdhsa_fp16_overflow 0
		.amdhsa_exception_fp_ieee_invalid_op 0
		.amdhsa_exception_fp_denorm_src 0
		.amdhsa_exception_fp_ieee_div_zero 0
		.amdhsa_exception_fp_ieee_overflow 0
		.amdhsa_exception_fp_ieee_underflow 0
		.amdhsa_exception_fp_ieee_inexact 0
		.amdhsa_exception_int_div_zero 0
	.end_amdhsa_kernel
	.section	.text._Z6kernelI20flag_heads_and_tailsaLj256ELj4ELb1ELj100EEvPKT0_PS1_,"axG",@progbits,_Z6kernelI20flag_heads_and_tailsaLj256ELj4ELb1ELj100EEvPKT0_PS1_,comdat
.Lfunc_end98:
	.size	_Z6kernelI20flag_heads_and_tailsaLj256ELj4ELb1ELj100EEvPKT0_PS1_, .Lfunc_end98-_Z6kernelI20flag_heads_and_tailsaLj256ELj4ELb1ELj100EEvPKT0_PS1_
                                        ; -- End function
	.set _Z6kernelI20flag_heads_and_tailsaLj256ELj4ELb1ELj100EEvPKT0_PS1_.num_vgpr, 11
	.set _Z6kernelI20flag_heads_and_tailsaLj256ELj4ELb1ELj100EEvPKT0_PS1_.num_agpr, 0
	.set _Z6kernelI20flag_heads_and_tailsaLj256ELj4ELb1ELj100EEvPKT0_PS1_.numbered_sgpr, 12
	.set _Z6kernelI20flag_heads_and_tailsaLj256ELj4ELb1ELj100EEvPKT0_PS1_.num_named_barrier, 0
	.set _Z6kernelI20flag_heads_and_tailsaLj256ELj4ELb1ELj100EEvPKT0_PS1_.private_seg_size, 0
	.set _Z6kernelI20flag_heads_and_tailsaLj256ELj4ELb1ELj100EEvPKT0_PS1_.uses_vcc, 1
	.set _Z6kernelI20flag_heads_and_tailsaLj256ELj4ELb1ELj100EEvPKT0_PS1_.uses_flat_scratch, 0
	.set _Z6kernelI20flag_heads_and_tailsaLj256ELj4ELb1ELj100EEvPKT0_PS1_.has_dyn_sized_stack, 0
	.set _Z6kernelI20flag_heads_and_tailsaLj256ELj4ELb1ELj100EEvPKT0_PS1_.has_recursion, 0
	.set _Z6kernelI20flag_heads_and_tailsaLj256ELj4ELb1ELj100EEvPKT0_PS1_.has_indirect_call, 0
	.section	.AMDGPU.csdata,"",@progbits
; Kernel info:
; codeLenInByte = 452
; TotalNumSgprs: 16
; NumVgprs: 11
; ScratchSize: 0
; MemoryBound: 0
; FloatMode: 240
; IeeeMode: 1
; LDSByteSize: 512 bytes/workgroup (compile time only)
; SGPRBlocks: 1
; VGPRBlocks: 2
; NumSGPRsForWavesPerEU: 16
; NumVGPRsForWavesPerEU: 11
; Occupancy: 10
; WaveLimiterHint : 1
; COMPUTE_PGM_RSRC2:SCRATCH_EN: 0
; COMPUTE_PGM_RSRC2:USER_SGPR: 6
; COMPUTE_PGM_RSRC2:TRAP_HANDLER: 0
; COMPUTE_PGM_RSRC2:TGID_X_EN: 1
; COMPUTE_PGM_RSRC2:TGID_Y_EN: 0
; COMPUTE_PGM_RSRC2:TGID_Z_EN: 0
; COMPUTE_PGM_RSRC2:TIDIG_COMP_CNT: 0
	.section	.text._Z6kernelI20flag_heads_and_tailsaLj256ELj8ELb1ELj100EEvPKT0_PS1_,"axG",@progbits,_Z6kernelI20flag_heads_and_tailsaLj256ELj8ELb1ELj100EEvPKT0_PS1_,comdat
	.protected	_Z6kernelI20flag_heads_and_tailsaLj256ELj8ELb1ELj100EEvPKT0_PS1_ ; -- Begin function _Z6kernelI20flag_heads_and_tailsaLj256ELj8ELb1ELj100EEvPKT0_PS1_
	.globl	_Z6kernelI20flag_heads_and_tailsaLj256ELj8ELb1ELj100EEvPKT0_PS1_
	.p2align	8
	.type	_Z6kernelI20flag_heads_and_tailsaLj256ELj8ELb1ELj100EEvPKT0_PS1_,@function
_Z6kernelI20flag_heads_and_tailsaLj256ELj8ELb1ELj100EEvPKT0_PS1_: ; @_Z6kernelI20flag_heads_and_tailsaLj256ELj8ELb1ELj100EEvPKT0_PS1_
; %bb.0:
	s_load_dwordx4 s[8:11], s[4:5], 0x0
	s_lshl_b32 s4, s6, 11
	s_mov_b32 s2, 0xc0c0004
	s_movk_i32 s5, 0xff
	v_cmp_ne_u32_e32 vcc, 0, v0
	s_waitcnt lgkmcnt(0)
	s_add_u32 s0, s8, s4
	s_addc_u32 s1, s9, 0
	global_load_ubyte v1, v0, s[0:1] offset:256
	global_load_ubyte v2, v0, s[0:1] offset:1536
	;; [unrolled: 1-line block ×4, first 2 shown]
	global_load_ubyte v6, v0, s[0:1]
	global_load_ubyte v7, v0, s[0:1] offset:768
	global_load_ubyte v8, v0, s[0:1] offset:1280
	;; [unrolled: 1-line block ×3, first 2 shown]
	v_cmp_ne_u32_e64 s[0:1], s5, v0
	v_add_u32_e32 v3, -1, v0
	s_movk_i32 s6, 0x64
	s_waitcnt vmcnt(3)
	v_perm_b32 v1, v6, v1, s2
	s_waitcnt vmcnt(2)
	v_perm_b32 v5, v5, v7, s2
	;; [unrolled: 2-line block ×4, first 2 shown]
	v_lshl_or_b32 v1, v5, 16, v1
	v_lshl_or_b32 v2, v2, 16, v4
	s_branch .LBB99_2
.LBB99_1:                               ;   in Loop: Header=BB99_2 Depth=1
	s_or_b64 exec, exec, s[2:3]
	v_lshrrev_b64 v[8:9], 24, v[1:2]
	v_cmp_eq_u16_sdwa s[2:3], v6, v1 src0_sel:BYTE_0 src1_sel:BYTE_0
	v_and_b32_sdwa v9, v2, s5 dst_sel:DWORD dst_unused:UNUSED_PAD src0_sel:WORD_1 src1_sel:DWORD
	v_cndmask_b32_e64 v6, 0, 1, s[2:3]
	v_lshrrev_b32_e32 v11, 8, v2
	v_cmp_eq_u16_e64 s[2:3], v9, v4
	v_cndmask_b32_e64 v12, 0, 1, s[2:3]
	v_cmp_eq_u16_sdwa s[2:3], v11, v9 src0_sel:BYTE_0 src1_sel:DWORD
	v_cndmask_b32_e64 v13, 0, 1, s[2:3]
	v_cmp_eq_u16_sdwa s[2:3], v2, v11 src0_sel:BYTE_0 src1_sel:BYTE_0
	v_and_b32_sdwa v10, v1, s5 dst_sel:DWORD dst_unused:UNUSED_PAD src0_sel:WORD_1 src1_sel:DWORD
	v_cndmask_b32_e64 v14, 0, 1, s[2:3]
	v_cmp_eq_u16_sdwa s[2:3], v8, v2 src0_sel:BYTE_0 src1_sel:BYTE_0
	v_lshrrev_b32_e32 v7, 8, v1
	v_cndmask_b32_e64 v9, 0, 1, s[2:3]
	v_cmp_eq_u16_sdwa s[2:3], v10, v8 src0_sel:DWORD src1_sel:BYTE_0
	v_cndmask_b32_e64 v15, 0, 1, s[2:3]
	v_cmp_eq_u16_sdwa s[2:3], v7, v10 src0_sel:BYTE_0 src1_sel:DWORD
	v_cndmask_b32_e64 v10, 0, 1, s[2:3]
	v_cmp_eq_u16_sdwa s[2:3], v1, v7 src0_sel:BYTE_0 src1_sel:BYTE_0
	v_cndmask_b32_e64 v16, 0, 1, s[2:3]
	s_waitcnt lgkmcnt(0)
	v_cmp_eq_u16_sdwa s[2:3], v4, v5 src0_sel:DWORD src1_sel:BYTE_0
	v_add_u16_e32 v5, v1, v16
	v_add_u16_sdwa v1, v1, v10 dst_sel:DWORD dst_unused:UNUSED_PAD src0_sel:WORD_1 src1_sel:DWORD
	v_add_u16_e32 v5, v5, v6
	v_add_u16_e32 v6, v7, v16
	;; [unrolled: 1-line block ×10, first 2 shown]
	v_add_u16_sdwa v1, v2, v13 dst_sel:DWORD dst_unused:UNUSED_PAD src0_sel:WORD_1 src1_sel:DWORD
	v_cndmask_b32_e64 v17, 0, 1, s[2:3]
	v_add_u16_e32 v11, v1, v12
	v_add_u16_e32 v1, v4, v12
	;; [unrolled: 1-line block ×3, first 2 shown]
	v_lshlrev_b16_e32 v1, 8, v6
	v_lshlrev_b16_e32 v2, 8, v8
	v_or_b32_sdwa v1, v5, v1 dst_sel:DWORD dst_unused:UNUSED_PAD src0_sel:BYTE_0 src1_sel:DWORD
	v_or_b32_sdwa v2, v7, v2 dst_sel:WORD_1 dst_unused:UNUSED_PAD src0_sel:BYTE_0 src1_sel:DWORD
	v_or_b32_sdwa v1, v1, v2 dst_sel:DWORD dst_unused:UNUSED_PAD src0_sel:WORD_0 src1_sel:DWORD
	v_lshlrev_b16_e32 v2, 8, v10
	v_lshlrev_b16_e32 v12, 8, v4
	v_or_b32_sdwa v2, v9, v2 dst_sel:DWORD dst_unused:UNUSED_PAD src0_sel:BYTE_0 src1_sel:DWORD
	v_or_b32_sdwa v12, v11, v12 dst_sel:WORD_1 dst_unused:UNUSED_PAD src0_sel:BYTE_0 src1_sel:DWORD
	s_add_i32 s6, s6, -1
	s_cmp_lg_u32 s6, 0
	v_or_b32_sdwa v2, v2, v12 dst_sel:DWORD dst_unused:UNUSED_PAD src0_sel:WORD_0 src1_sel:DWORD
	s_barrier
	s_cbranch_scc0 .LBB99_6
.LBB99_2:                               ; =>This Inner Loop Header: Depth=1
	v_lshrrev_b32_e32 v4, 24, v2
	v_mov_b32_e32 v6, 0x7b
	ds_write_b8 v0, v4
	s_waitcnt lgkmcnt(0)
	s_barrier
	s_and_saveexec_b64 s[2:3], vcc
; %bb.3:                                ;   in Loop: Header=BB99_2 Depth=1
	ds_read_u8 v6, v3
; %bb.4:                                ;   in Loop: Header=BB99_2 Depth=1
	s_or_b64 exec, exec, s[2:3]
	v_mov_b32_e32 v5, 0xea
	ds_write_b8 v0, v1 offset:256
	s_waitcnt lgkmcnt(0)
	s_barrier
	s_and_saveexec_b64 s[2:3], s[0:1]
	s_cbranch_execz .LBB99_1
; %bb.5:                                ;   in Loop: Header=BB99_2 Depth=1
	ds_read_u8 v5, v0 offset:257
	s_branch .LBB99_1
.LBB99_6:
	s_add_u32 s0, s10, s4
	s_addc_u32 s1, s11, 0
	v_mov_b32_e32 v1, s1
	v_add_co_u32_e32 v0, vcc, s0, v0
	v_addc_co_u32_e32 v1, vcc, 0, v1, vcc
	global_store_byte v[0:1], v5, off
	global_store_byte v[0:1], v6, off offset:256
	global_store_byte v[0:1], v7, off offset:512
	global_store_byte v[0:1], v8, off offset:768
	global_store_byte v[0:1], v9, off offset:1024
	global_store_byte v[0:1], v10, off offset:1280
	global_store_byte v[0:1], v11, off offset:1536
	global_store_byte v[0:1], v4, off offset:1792
	s_endpgm
	.section	.rodata,"a",@progbits
	.p2align	6, 0x0
	.amdhsa_kernel _Z6kernelI20flag_heads_and_tailsaLj256ELj8ELb1ELj100EEvPKT0_PS1_
		.amdhsa_group_segment_fixed_size 512
		.amdhsa_private_segment_fixed_size 0
		.amdhsa_kernarg_size 16
		.amdhsa_user_sgpr_count 6
		.amdhsa_user_sgpr_private_segment_buffer 1
		.amdhsa_user_sgpr_dispatch_ptr 0
		.amdhsa_user_sgpr_queue_ptr 0
		.amdhsa_user_sgpr_kernarg_segment_ptr 1
		.amdhsa_user_sgpr_dispatch_id 0
		.amdhsa_user_sgpr_flat_scratch_init 0
		.amdhsa_user_sgpr_private_segment_size 0
		.amdhsa_uses_dynamic_stack 0
		.amdhsa_system_sgpr_private_segment_wavefront_offset 0
		.amdhsa_system_sgpr_workgroup_id_x 1
		.amdhsa_system_sgpr_workgroup_id_y 0
		.amdhsa_system_sgpr_workgroup_id_z 0
		.amdhsa_system_sgpr_workgroup_info 0
		.amdhsa_system_vgpr_workitem_id 0
		.amdhsa_next_free_vgpr 18
		.amdhsa_next_free_sgpr 12
		.amdhsa_reserve_vcc 1
		.amdhsa_reserve_flat_scratch 0
		.amdhsa_float_round_mode_32 0
		.amdhsa_float_round_mode_16_64 0
		.amdhsa_float_denorm_mode_32 3
		.amdhsa_float_denorm_mode_16_64 3
		.amdhsa_dx10_clamp 1
		.amdhsa_ieee_mode 1
		.amdhsa_fp16_overflow 0
		.amdhsa_exception_fp_ieee_invalid_op 0
		.amdhsa_exception_fp_denorm_src 0
		.amdhsa_exception_fp_ieee_div_zero 0
		.amdhsa_exception_fp_ieee_overflow 0
		.amdhsa_exception_fp_ieee_underflow 0
		.amdhsa_exception_fp_ieee_inexact 0
		.amdhsa_exception_int_div_zero 0
	.end_amdhsa_kernel
	.section	.text._Z6kernelI20flag_heads_and_tailsaLj256ELj8ELb1ELj100EEvPKT0_PS1_,"axG",@progbits,_Z6kernelI20flag_heads_and_tailsaLj256ELj8ELb1ELj100EEvPKT0_PS1_,comdat
.Lfunc_end99:
	.size	_Z6kernelI20flag_heads_and_tailsaLj256ELj8ELb1ELj100EEvPKT0_PS1_, .Lfunc_end99-_Z6kernelI20flag_heads_and_tailsaLj256ELj8ELb1ELj100EEvPKT0_PS1_
                                        ; -- End function
	.set _Z6kernelI20flag_heads_and_tailsaLj256ELj8ELb1ELj100EEvPKT0_PS1_.num_vgpr, 18
	.set _Z6kernelI20flag_heads_and_tailsaLj256ELj8ELb1ELj100EEvPKT0_PS1_.num_agpr, 0
	.set _Z6kernelI20flag_heads_and_tailsaLj256ELj8ELb1ELj100EEvPKT0_PS1_.numbered_sgpr, 12
	.set _Z6kernelI20flag_heads_and_tailsaLj256ELj8ELb1ELj100EEvPKT0_PS1_.num_named_barrier, 0
	.set _Z6kernelI20flag_heads_and_tailsaLj256ELj8ELb1ELj100EEvPKT0_PS1_.private_seg_size, 0
	.set _Z6kernelI20flag_heads_and_tailsaLj256ELj8ELb1ELj100EEvPKT0_PS1_.uses_vcc, 1
	.set _Z6kernelI20flag_heads_and_tailsaLj256ELj8ELb1ELj100EEvPKT0_PS1_.uses_flat_scratch, 0
	.set _Z6kernelI20flag_heads_and_tailsaLj256ELj8ELb1ELj100EEvPKT0_PS1_.has_dyn_sized_stack, 0
	.set _Z6kernelI20flag_heads_and_tailsaLj256ELj8ELb1ELj100EEvPKT0_PS1_.has_recursion, 0
	.set _Z6kernelI20flag_heads_and_tailsaLj256ELj8ELb1ELj100EEvPKT0_PS1_.has_indirect_call, 0
	.section	.AMDGPU.csdata,"",@progbits
; Kernel info:
; codeLenInByte = 700
; TotalNumSgprs: 16
; NumVgprs: 18
; ScratchSize: 0
; MemoryBound: 0
; FloatMode: 240
; IeeeMode: 1
; LDSByteSize: 512 bytes/workgroup (compile time only)
; SGPRBlocks: 1
; VGPRBlocks: 4
; NumSGPRsForWavesPerEU: 16
; NumVGPRsForWavesPerEU: 18
; Occupancy: 10
; WaveLimiterHint : 1
; COMPUTE_PGM_RSRC2:SCRATCH_EN: 0
; COMPUTE_PGM_RSRC2:USER_SGPR: 6
; COMPUTE_PGM_RSRC2:TRAP_HANDLER: 0
; COMPUTE_PGM_RSRC2:TGID_X_EN: 1
; COMPUTE_PGM_RSRC2:TGID_Y_EN: 0
; COMPUTE_PGM_RSRC2:TGID_Z_EN: 0
; COMPUTE_PGM_RSRC2:TIDIG_COMP_CNT: 0
	.section	.text._Z6kernelI20flag_heads_and_tailshLj256ELj1ELb0ELj100EEvPKT0_PS1_,"axG",@progbits,_Z6kernelI20flag_heads_and_tailshLj256ELj1ELb0ELj100EEvPKT0_PS1_,comdat
	.protected	_Z6kernelI20flag_heads_and_tailshLj256ELj1ELb0ELj100EEvPKT0_PS1_ ; -- Begin function _Z6kernelI20flag_heads_and_tailshLj256ELj1ELb0ELj100EEvPKT0_PS1_
	.globl	_Z6kernelI20flag_heads_and_tailshLj256ELj1ELb0ELj100EEvPKT0_PS1_
	.p2align	8
	.type	_Z6kernelI20flag_heads_and_tailshLj256ELj1ELb0ELj100EEvPKT0_PS1_,@function
_Z6kernelI20flag_heads_and_tailshLj256ELj1ELb0ELj100EEvPKT0_PS1_: ; @_Z6kernelI20flag_heads_and_tailshLj256ELj1ELb0ELj100EEvPKT0_PS1_
; %bb.0:
	s_load_dwordx4 s[0:3], s[4:5], 0x0
	s_lshl_b32 s6, s6, 8
	v_cmp_ne_u32_e32 vcc, 0, v0
	v_add_u32_e32 v2, -1, v0
	s_movk_i32 s7, 0x64
	s_waitcnt lgkmcnt(0)
	s_add_u32 s0, s0, s6
	s_addc_u32 s1, s1, 0
	global_load_ubyte v1, v0, s[0:1]
	s_movk_i32 s0, 0xff
	v_cmp_ne_u32_e64 s[0:1], s0, v0
	s_branch .LBB100_2
.LBB100_1:                              ;   in Loop: Header=BB100_2 Depth=1
	s_or_b64 exec, exec, s[4:5]
	v_add_u16_e32 v1, v4, v1
	s_add_i32 s7, s7, -1
	v_add_u16_e32 v1, v1, v3
	s_cmp_lg_u32 s7, 0
	s_barrier
	s_cbranch_scc0 .LBB100_6
.LBB100_2:                              ; =>This Inner Loop Header: Depth=1
	v_mov_b32_e32 v3, 1
	v_mov_b32_e32 v4, 1
	s_waitcnt vmcnt(0)
	ds_write_b8 v0, v1
	s_waitcnt lgkmcnt(0)
	s_barrier
	s_and_saveexec_b64 s[4:5], vcc
	s_cbranch_execz .LBB100_4
; %bb.3:                                ;   in Loop: Header=BB100_2 Depth=1
	ds_read_u8 v4, v2
	s_waitcnt lgkmcnt(0)
	v_cmp_eq_u16_sdwa s[8:9], v4, v1 src0_sel:DWORD src1_sel:BYTE_0
	v_cndmask_b32_e64 v4, 0, 1, s[8:9]
.LBB100_4:                              ;   in Loop: Header=BB100_2 Depth=1
	s_or_b64 exec, exec, s[4:5]
	ds_write_b8 v0, v1 offset:256
	s_waitcnt lgkmcnt(0)
	s_barrier
	s_and_saveexec_b64 s[4:5], s[0:1]
	s_cbranch_execz .LBB100_1
; %bb.5:                                ;   in Loop: Header=BB100_2 Depth=1
	ds_read_u8 v3, v0 offset:257
	s_waitcnt lgkmcnt(0)
	v_cmp_eq_u16_sdwa s[8:9], v1, v3 src0_sel:BYTE_0 src1_sel:DWORD
	v_cndmask_b32_e64 v3, 0, 1, s[8:9]
	s_branch .LBB100_1
.LBB100_6:
	s_add_u32 s0, s2, s6
	s_addc_u32 s1, s3, 0
	v_mov_b32_e32 v3, s1
	v_add_co_u32_e32 v2, vcc, s0, v0
	v_addc_co_u32_e32 v3, vcc, 0, v3, vcc
	global_store_byte v[2:3], v1, off
	s_endpgm
	.section	.rodata,"a",@progbits
	.p2align	6, 0x0
	.amdhsa_kernel _Z6kernelI20flag_heads_and_tailshLj256ELj1ELb0ELj100EEvPKT0_PS1_
		.amdhsa_group_segment_fixed_size 512
		.amdhsa_private_segment_fixed_size 0
		.amdhsa_kernarg_size 16
		.amdhsa_user_sgpr_count 6
		.amdhsa_user_sgpr_private_segment_buffer 1
		.amdhsa_user_sgpr_dispatch_ptr 0
		.amdhsa_user_sgpr_queue_ptr 0
		.amdhsa_user_sgpr_kernarg_segment_ptr 1
		.amdhsa_user_sgpr_dispatch_id 0
		.amdhsa_user_sgpr_flat_scratch_init 0
		.amdhsa_user_sgpr_private_segment_size 0
		.amdhsa_uses_dynamic_stack 0
		.amdhsa_system_sgpr_private_segment_wavefront_offset 0
		.amdhsa_system_sgpr_workgroup_id_x 1
		.amdhsa_system_sgpr_workgroup_id_y 0
		.amdhsa_system_sgpr_workgroup_id_z 0
		.amdhsa_system_sgpr_workgroup_info 0
		.amdhsa_system_vgpr_workitem_id 0
		.amdhsa_next_free_vgpr 5
		.amdhsa_next_free_sgpr 10
		.amdhsa_reserve_vcc 1
		.amdhsa_reserve_flat_scratch 0
		.amdhsa_float_round_mode_32 0
		.amdhsa_float_round_mode_16_64 0
		.amdhsa_float_denorm_mode_32 3
		.amdhsa_float_denorm_mode_16_64 3
		.amdhsa_dx10_clamp 1
		.amdhsa_ieee_mode 1
		.amdhsa_fp16_overflow 0
		.amdhsa_exception_fp_ieee_invalid_op 0
		.amdhsa_exception_fp_denorm_src 0
		.amdhsa_exception_fp_ieee_div_zero 0
		.amdhsa_exception_fp_ieee_overflow 0
		.amdhsa_exception_fp_ieee_underflow 0
		.amdhsa_exception_fp_ieee_inexact 0
		.amdhsa_exception_int_div_zero 0
	.end_amdhsa_kernel
	.section	.text._Z6kernelI20flag_heads_and_tailshLj256ELj1ELb0ELj100EEvPKT0_PS1_,"axG",@progbits,_Z6kernelI20flag_heads_and_tailshLj256ELj1ELb0ELj100EEvPKT0_PS1_,comdat
.Lfunc_end100:
	.size	_Z6kernelI20flag_heads_and_tailshLj256ELj1ELb0ELj100EEvPKT0_PS1_, .Lfunc_end100-_Z6kernelI20flag_heads_and_tailshLj256ELj1ELb0ELj100EEvPKT0_PS1_
                                        ; -- End function
	.set _Z6kernelI20flag_heads_and_tailshLj256ELj1ELb0ELj100EEvPKT0_PS1_.num_vgpr, 5
	.set _Z6kernelI20flag_heads_and_tailshLj256ELj1ELb0ELj100EEvPKT0_PS1_.num_agpr, 0
	.set _Z6kernelI20flag_heads_and_tailshLj256ELj1ELb0ELj100EEvPKT0_PS1_.numbered_sgpr, 10
	.set _Z6kernelI20flag_heads_and_tailshLj256ELj1ELb0ELj100EEvPKT0_PS1_.num_named_barrier, 0
	.set _Z6kernelI20flag_heads_and_tailshLj256ELj1ELb0ELj100EEvPKT0_PS1_.private_seg_size, 0
	.set _Z6kernelI20flag_heads_and_tailshLj256ELj1ELb0ELj100EEvPKT0_PS1_.uses_vcc, 1
	.set _Z6kernelI20flag_heads_and_tailshLj256ELj1ELb0ELj100EEvPKT0_PS1_.uses_flat_scratch, 0
	.set _Z6kernelI20flag_heads_and_tailshLj256ELj1ELb0ELj100EEvPKT0_PS1_.has_dyn_sized_stack, 0
	.set _Z6kernelI20flag_heads_and_tailshLj256ELj1ELb0ELj100EEvPKT0_PS1_.has_recursion, 0
	.set _Z6kernelI20flag_heads_and_tailshLj256ELj1ELb0ELj100EEvPKT0_PS1_.has_indirect_call, 0
	.section	.AMDGPU.csdata,"",@progbits
; Kernel info:
; codeLenInByte = 244
; TotalNumSgprs: 14
; NumVgprs: 5
; ScratchSize: 0
; MemoryBound: 0
; FloatMode: 240
; IeeeMode: 1
; LDSByteSize: 512 bytes/workgroup (compile time only)
; SGPRBlocks: 1
; VGPRBlocks: 1
; NumSGPRsForWavesPerEU: 14
; NumVGPRsForWavesPerEU: 5
; Occupancy: 10
; WaveLimiterHint : 0
; COMPUTE_PGM_RSRC2:SCRATCH_EN: 0
; COMPUTE_PGM_RSRC2:USER_SGPR: 6
; COMPUTE_PGM_RSRC2:TRAP_HANDLER: 0
; COMPUTE_PGM_RSRC2:TGID_X_EN: 1
; COMPUTE_PGM_RSRC2:TGID_Y_EN: 0
; COMPUTE_PGM_RSRC2:TGID_Z_EN: 0
; COMPUTE_PGM_RSRC2:TIDIG_COMP_CNT: 0
	.section	.text._Z6kernelI20flag_heads_and_tailshLj256ELj2ELb0ELj100EEvPKT0_PS1_,"axG",@progbits,_Z6kernelI20flag_heads_and_tailshLj256ELj2ELb0ELj100EEvPKT0_PS1_,comdat
	.protected	_Z6kernelI20flag_heads_and_tailshLj256ELj2ELb0ELj100EEvPKT0_PS1_ ; -- Begin function _Z6kernelI20flag_heads_and_tailshLj256ELj2ELb0ELj100EEvPKT0_PS1_
	.globl	_Z6kernelI20flag_heads_and_tailshLj256ELj2ELb0ELj100EEvPKT0_PS1_
	.p2align	8
	.type	_Z6kernelI20flag_heads_and_tailshLj256ELj2ELb0ELj100EEvPKT0_PS1_,@function
_Z6kernelI20flag_heads_and_tailshLj256ELj2ELb0ELj100EEvPKT0_PS1_: ; @_Z6kernelI20flag_heads_and_tailshLj256ELj2ELb0ELj100EEvPKT0_PS1_
; %bb.0:
	s_load_dwordx4 s[8:11], s[4:5], 0x0
	s_lshl_b32 s6, s6, 9
	s_mov_b32 s2, 0xc0c0004
	v_cmp_ne_u32_e32 vcc, 0, v0
	v_add_u32_e32 v2, -1, v0
	s_waitcnt lgkmcnt(0)
	s_add_u32 s0, s8, s6
	s_addc_u32 s1, s9, 0
	global_load_ubyte v1, v0, s[0:1] offset:256
	global_load_ubyte v3, v0, s[0:1]
	s_movk_i32 s0, 0xff
	v_cmp_ne_u32_e64 s[0:1], s0, v0
	s_movk_i32 s7, 0x64
	s_waitcnt vmcnt(0)
	v_perm_b32 v1, v3, v1, s2
	s_branch .LBB101_2
.LBB101_1:                              ;   in Loop: Header=BB101_2 Depth=1
	s_or_b64 exec, exec, s[4:5]
	v_add_u16_e32 v3, v6, v3
	v_add_u16_e32 v1, v5, v1
	;; [unrolled: 1-line block ×3, first 2 shown]
	v_add_u16_sdwa v3, v3, v4 dst_sel:BYTE_1 dst_unused:UNUSED_PAD src0_sel:DWORD src1_sel:DWORD
	v_or_b32_sdwa v1, v1, v3 dst_sel:DWORD dst_unused:UNUSED_PAD src0_sel:BYTE_0 src1_sel:DWORD
	s_add_i32 s7, s7, -1
	v_and_b32_e32 v1, 0xffff, v1
	s_cmp_lg_u32 s7, 0
	s_barrier
	s_cbranch_scc0 .LBB101_6
.LBB101_2:                              ; =>This Inner Loop Header: Depth=1
	v_lshrrev_b16_e32 v3, 8, v1
	v_cmp_eq_u16_sdwa s[2:3], v1, v3 src0_sel:BYTE_0 src1_sel:DWORD
	v_mov_b32_e32 v4, 1
	v_mov_b32_e32 v5, 1
	ds_write_b8 v0, v3
	s_waitcnt lgkmcnt(0)
	s_barrier
	s_and_saveexec_b64 s[4:5], vcc
	s_cbranch_execz .LBB101_4
; %bb.3:                                ;   in Loop: Header=BB101_2 Depth=1
	ds_read_u8 v5, v2
	s_waitcnt lgkmcnt(0)
	v_cmp_eq_u16_sdwa s[8:9], v5, v1 src0_sel:DWORD src1_sel:BYTE_0
	v_cndmask_b32_e64 v5, 0, 1, s[8:9]
.LBB101_4:                              ;   in Loop: Header=BB101_2 Depth=1
	s_or_b64 exec, exec, s[4:5]
	v_cndmask_b32_e64 v6, 0, 1, s[2:3]
	ds_write_b8 v0, v1 offset:256
	s_waitcnt lgkmcnt(0)
	s_barrier
	s_and_saveexec_b64 s[4:5], s[0:1]
	s_cbranch_execz .LBB101_1
; %bb.5:                                ;   in Loop: Header=BB101_2 Depth=1
	ds_read_u8 v4, v0 offset:257
	s_waitcnt lgkmcnt(0)
	v_cmp_eq_u16_e64 s[2:3], v3, v4
	v_cndmask_b32_e64 v4, 0, 1, s[2:3]
	s_branch .LBB101_1
.LBB101_6:
	s_add_u32 s0, s10, s6
	s_addc_u32 s1, s11, 0
	v_mov_b32_e32 v3, s1
	v_add_co_u32_e32 v2, vcc, s0, v0
	v_addc_co_u32_e32 v3, vcc, 0, v3, vcc
	v_lshrrev_b16_e32 v0, 8, v1
	global_store_byte v[2:3], v1, off
	global_store_byte v[2:3], v0, off offset:256
	s_endpgm
	.section	.rodata,"a",@progbits
	.p2align	6, 0x0
	.amdhsa_kernel _Z6kernelI20flag_heads_and_tailshLj256ELj2ELb0ELj100EEvPKT0_PS1_
		.amdhsa_group_segment_fixed_size 512
		.amdhsa_private_segment_fixed_size 0
		.amdhsa_kernarg_size 16
		.amdhsa_user_sgpr_count 6
		.amdhsa_user_sgpr_private_segment_buffer 1
		.amdhsa_user_sgpr_dispatch_ptr 0
		.amdhsa_user_sgpr_queue_ptr 0
		.amdhsa_user_sgpr_kernarg_segment_ptr 1
		.amdhsa_user_sgpr_dispatch_id 0
		.amdhsa_user_sgpr_flat_scratch_init 0
		.amdhsa_user_sgpr_private_segment_size 0
		.amdhsa_uses_dynamic_stack 0
		.amdhsa_system_sgpr_private_segment_wavefront_offset 0
		.amdhsa_system_sgpr_workgroup_id_x 1
		.amdhsa_system_sgpr_workgroup_id_y 0
		.amdhsa_system_sgpr_workgroup_id_z 0
		.amdhsa_system_sgpr_workgroup_info 0
		.amdhsa_system_vgpr_workitem_id 0
		.amdhsa_next_free_vgpr 7
		.amdhsa_next_free_sgpr 12
		.amdhsa_reserve_vcc 1
		.amdhsa_reserve_flat_scratch 0
		.amdhsa_float_round_mode_32 0
		.amdhsa_float_round_mode_16_64 0
		.amdhsa_float_denorm_mode_32 3
		.amdhsa_float_denorm_mode_16_64 3
		.amdhsa_dx10_clamp 1
		.amdhsa_ieee_mode 1
		.amdhsa_fp16_overflow 0
		.amdhsa_exception_fp_ieee_invalid_op 0
		.amdhsa_exception_fp_denorm_src 0
		.amdhsa_exception_fp_ieee_div_zero 0
		.amdhsa_exception_fp_ieee_overflow 0
		.amdhsa_exception_fp_ieee_underflow 0
		.amdhsa_exception_fp_ieee_inexact 0
		.amdhsa_exception_int_div_zero 0
	.end_amdhsa_kernel
	.section	.text._Z6kernelI20flag_heads_and_tailshLj256ELj2ELb0ELj100EEvPKT0_PS1_,"axG",@progbits,_Z6kernelI20flag_heads_and_tailshLj256ELj2ELb0ELj100EEvPKT0_PS1_,comdat
.Lfunc_end101:
	.size	_Z6kernelI20flag_heads_and_tailshLj256ELj2ELb0ELj100EEvPKT0_PS1_, .Lfunc_end101-_Z6kernelI20flag_heads_and_tailshLj256ELj2ELb0ELj100EEvPKT0_PS1_
                                        ; -- End function
	.set _Z6kernelI20flag_heads_and_tailshLj256ELj2ELb0ELj100EEvPKT0_PS1_.num_vgpr, 7
	.set _Z6kernelI20flag_heads_and_tailshLj256ELj2ELb0ELj100EEvPKT0_PS1_.num_agpr, 0
	.set _Z6kernelI20flag_heads_and_tailshLj256ELj2ELb0ELj100EEvPKT0_PS1_.numbered_sgpr, 12
	.set _Z6kernelI20flag_heads_and_tailshLj256ELj2ELb0ELj100EEvPKT0_PS1_.num_named_barrier, 0
	.set _Z6kernelI20flag_heads_and_tailshLj256ELj2ELb0ELj100EEvPKT0_PS1_.private_seg_size, 0
	.set _Z6kernelI20flag_heads_and_tailshLj256ELj2ELb0ELj100EEvPKT0_PS1_.uses_vcc, 1
	.set _Z6kernelI20flag_heads_and_tailshLj256ELj2ELb0ELj100EEvPKT0_PS1_.uses_flat_scratch, 0
	.set _Z6kernelI20flag_heads_and_tailshLj256ELj2ELb0ELj100EEvPKT0_PS1_.has_dyn_sized_stack, 0
	.set _Z6kernelI20flag_heads_and_tailshLj256ELj2ELb0ELj100EEvPKT0_PS1_.has_recursion, 0
	.set _Z6kernelI20flag_heads_and_tailshLj256ELj2ELb0ELj100EEvPKT0_PS1_.has_indirect_call, 0
	.section	.AMDGPU.csdata,"",@progbits
; Kernel info:
; codeLenInByte = 328
; TotalNumSgprs: 16
; NumVgprs: 7
; ScratchSize: 0
; MemoryBound: 0
; FloatMode: 240
; IeeeMode: 1
; LDSByteSize: 512 bytes/workgroup (compile time only)
; SGPRBlocks: 1
; VGPRBlocks: 1
; NumSGPRsForWavesPerEU: 16
; NumVGPRsForWavesPerEU: 7
; Occupancy: 10
; WaveLimiterHint : 1
; COMPUTE_PGM_RSRC2:SCRATCH_EN: 0
; COMPUTE_PGM_RSRC2:USER_SGPR: 6
; COMPUTE_PGM_RSRC2:TRAP_HANDLER: 0
; COMPUTE_PGM_RSRC2:TGID_X_EN: 1
; COMPUTE_PGM_RSRC2:TGID_Y_EN: 0
; COMPUTE_PGM_RSRC2:TGID_Z_EN: 0
; COMPUTE_PGM_RSRC2:TIDIG_COMP_CNT: 0
	.section	.text._Z6kernelI20flag_heads_and_tailshLj256ELj3ELb0ELj100EEvPKT0_PS1_,"axG",@progbits,_Z6kernelI20flag_heads_and_tailshLj256ELj3ELb0ELj100EEvPKT0_PS1_,comdat
	.protected	_Z6kernelI20flag_heads_and_tailshLj256ELj3ELb0ELj100EEvPKT0_PS1_ ; -- Begin function _Z6kernelI20flag_heads_and_tailshLj256ELj3ELb0ELj100EEvPKT0_PS1_
	.globl	_Z6kernelI20flag_heads_and_tailshLj256ELj3ELb0ELj100EEvPKT0_PS1_
	.p2align	8
	.type	_Z6kernelI20flag_heads_and_tailshLj256ELj3ELb0ELj100EEvPKT0_PS1_,@function
_Z6kernelI20flag_heads_and_tailshLj256ELj3ELb0ELj100EEvPKT0_PS1_: ; @_Z6kernelI20flag_heads_and_tailshLj256ELj3ELb0ELj100EEvPKT0_PS1_
; %bb.0:
	s_load_dwordx4 s[0:3], s[4:5], 0x0
	s_mul_i32 s10, s6, 0x300
	s_mov_b32 s4, 0xc0c0004
	s_movk_i32 s11, 0x64
	v_cmp_ne_u32_e32 vcc, 0, v0
	s_waitcnt lgkmcnt(0)
	s_add_u32 s0, s0, s10
	s_addc_u32 s1, s1, 0
	global_load_ubyte v1, v0, s[0:1] offset:256
	global_load_ubyte v3, v0, s[0:1] offset:512
	global_load_ubyte v4, v0, s[0:1]
	s_movk_i32 s0, 0xff
	v_cmp_ne_u32_e64 s[0:1], s0, v0
	v_add_u32_e32 v2, -1, v0
	s_mov_b32 s12, 0xc0c0104
	s_waitcnt vmcnt(0)
	v_perm_b32 v1, v4, v1, s4
	v_lshl_or_b32 v1, v3, 16, v1
	s_branch .LBB102_2
.LBB102_1:                              ;   in Loop: Header=BB102_2 Depth=1
	s_or_b64 exec, exec, s[4:5]
	v_add_u16_e32 v3, v7, v3
	v_add_u16_e32 v5, v5, v1
	v_add_u16_sdwa v1, v6, v1 dst_sel:DWORD dst_unused:UNUSED_PAD src0_sel:DWORD src1_sel:BYTE_1
	v_add_u16_e32 v3, v3, v4
	v_and_b32_e32 v4, 0xff, v3
	v_add_u16_sdwa v1, v1, v7 dst_sel:BYTE_1 dst_unused:UNUSED_PAD src0_sel:DWORD src1_sel:DWORD
	v_add_u16_e32 v5, v5, v6
	v_perm_b32 v1, v5, v1, s12
	v_lshlrev_b32_e32 v4, 16, v4
	s_add_i32 s11, s11, -1
	v_or_b32_e32 v1, v1, v4
	s_cmp_lg_u32 s11, 0
	s_barrier
	s_cbranch_scc0 .LBB102_6
.LBB102_2:                              ; =>This Inner Loop Header: Depth=1
	v_lshrrev_b32_e32 v3, 16, v1
	v_lshrrev_b32_e32 v4, 8, v1
	v_cmp_eq_u16_sdwa s[4:5], v4, v3 src0_sel:BYTE_0 src1_sel:BYTE_0
	v_cmp_eq_u16_sdwa s[6:7], v1, v4 src0_sel:BYTE_0 src1_sel:BYTE_0
	v_mov_b32_e32 v4, 1
	v_mov_b32_e32 v5, 1
	ds_write_b8 v0, v3
	s_waitcnt lgkmcnt(0)
	s_barrier
	s_and_saveexec_b64 s[8:9], vcc
	s_cbranch_execz .LBB102_4
; %bb.3:                                ;   in Loop: Header=BB102_2 Depth=1
	ds_read_u8 v5, v2
	s_waitcnt lgkmcnt(0)
	v_cmp_eq_u16_sdwa s[14:15], v5, v1 src0_sel:DWORD src1_sel:BYTE_0
	v_cndmask_b32_e64 v5, 0, 1, s[14:15]
.LBB102_4:                              ;   in Loop: Header=BB102_2 Depth=1
	s_or_b64 exec, exec, s[8:9]
	v_cndmask_b32_e64 v7, 0, 1, s[4:5]
	v_cndmask_b32_e64 v6, 0, 1, s[6:7]
	ds_write_b8 v0, v1 offset:256
	s_waitcnt lgkmcnt(0)
	s_barrier
	s_and_saveexec_b64 s[4:5], s[0:1]
	s_cbranch_execz .LBB102_1
; %bb.5:                                ;   in Loop: Header=BB102_2 Depth=1
	ds_read_u8 v4, v0 offset:257
	s_waitcnt lgkmcnt(0)
	v_cmp_eq_u16_sdwa s[6:7], v3, v4 src0_sel:BYTE_0 src1_sel:DWORD
	v_cndmask_b32_e64 v4, 0, 1, s[6:7]
	s_branch .LBB102_1
.LBB102_6:
	s_add_u32 s0, s2, s10
	s_addc_u32 s1, s3, 0
	v_mov_b32_e32 v2, s1
	v_add_co_u32_e32 v4, vcc, s0, v0
	v_addc_co_u32_e32 v5, vcc, 0, v2, vcc
	v_lshrrev_b32_e32 v0, 8, v1
	global_store_byte v[4:5], v1, off
	global_store_byte v[4:5], v0, off offset:256
	global_store_byte v[4:5], v3, off offset:512
	s_endpgm
	.section	.rodata,"a",@progbits
	.p2align	6, 0x0
	.amdhsa_kernel _Z6kernelI20flag_heads_and_tailshLj256ELj3ELb0ELj100EEvPKT0_PS1_
		.amdhsa_group_segment_fixed_size 512
		.amdhsa_private_segment_fixed_size 0
		.amdhsa_kernarg_size 16
		.amdhsa_user_sgpr_count 6
		.amdhsa_user_sgpr_private_segment_buffer 1
		.amdhsa_user_sgpr_dispatch_ptr 0
		.amdhsa_user_sgpr_queue_ptr 0
		.amdhsa_user_sgpr_kernarg_segment_ptr 1
		.amdhsa_user_sgpr_dispatch_id 0
		.amdhsa_user_sgpr_flat_scratch_init 0
		.amdhsa_user_sgpr_private_segment_size 0
		.amdhsa_uses_dynamic_stack 0
		.amdhsa_system_sgpr_private_segment_wavefront_offset 0
		.amdhsa_system_sgpr_workgroup_id_x 1
		.amdhsa_system_sgpr_workgroup_id_y 0
		.amdhsa_system_sgpr_workgroup_id_z 0
		.amdhsa_system_sgpr_workgroup_info 0
		.amdhsa_system_vgpr_workitem_id 0
		.amdhsa_next_free_vgpr 8
		.amdhsa_next_free_sgpr 16
		.amdhsa_reserve_vcc 1
		.amdhsa_reserve_flat_scratch 0
		.amdhsa_float_round_mode_32 0
		.amdhsa_float_round_mode_16_64 0
		.amdhsa_float_denorm_mode_32 3
		.amdhsa_float_denorm_mode_16_64 3
		.amdhsa_dx10_clamp 1
		.amdhsa_ieee_mode 1
		.amdhsa_fp16_overflow 0
		.amdhsa_exception_fp_ieee_invalid_op 0
		.amdhsa_exception_fp_denorm_src 0
		.amdhsa_exception_fp_ieee_div_zero 0
		.amdhsa_exception_fp_ieee_overflow 0
		.amdhsa_exception_fp_ieee_underflow 0
		.amdhsa_exception_fp_ieee_inexact 0
		.amdhsa_exception_int_div_zero 0
	.end_amdhsa_kernel
	.section	.text._Z6kernelI20flag_heads_and_tailshLj256ELj3ELb0ELj100EEvPKT0_PS1_,"axG",@progbits,_Z6kernelI20flag_heads_and_tailshLj256ELj3ELb0ELj100EEvPKT0_PS1_,comdat
.Lfunc_end102:
	.size	_Z6kernelI20flag_heads_and_tailshLj256ELj3ELb0ELj100EEvPKT0_PS1_, .Lfunc_end102-_Z6kernelI20flag_heads_and_tailshLj256ELj3ELb0ELj100EEvPKT0_PS1_
                                        ; -- End function
	.set _Z6kernelI20flag_heads_and_tailshLj256ELj3ELb0ELj100EEvPKT0_PS1_.num_vgpr, 8
	.set _Z6kernelI20flag_heads_and_tailshLj256ELj3ELb0ELj100EEvPKT0_PS1_.num_agpr, 0
	.set _Z6kernelI20flag_heads_and_tailshLj256ELj3ELb0ELj100EEvPKT0_PS1_.numbered_sgpr, 16
	.set _Z6kernelI20flag_heads_and_tailshLj256ELj3ELb0ELj100EEvPKT0_PS1_.num_named_barrier, 0
	.set _Z6kernelI20flag_heads_and_tailshLj256ELj3ELb0ELj100EEvPKT0_PS1_.private_seg_size, 0
	.set _Z6kernelI20flag_heads_and_tailshLj256ELj3ELb0ELj100EEvPKT0_PS1_.uses_vcc, 1
	.set _Z6kernelI20flag_heads_and_tailshLj256ELj3ELb0ELj100EEvPKT0_PS1_.uses_flat_scratch, 0
	.set _Z6kernelI20flag_heads_and_tailshLj256ELj3ELb0ELj100EEvPKT0_PS1_.has_dyn_sized_stack, 0
	.set _Z6kernelI20flag_heads_and_tailshLj256ELj3ELb0ELj100EEvPKT0_PS1_.has_recursion, 0
	.set _Z6kernelI20flag_heads_and_tailshLj256ELj3ELb0ELj100EEvPKT0_PS1_.has_indirect_call, 0
	.section	.AMDGPU.csdata,"",@progbits
; Kernel info:
; codeLenInByte = 404
; TotalNumSgprs: 20
; NumVgprs: 8
; ScratchSize: 0
; MemoryBound: 0
; FloatMode: 240
; IeeeMode: 1
; LDSByteSize: 512 bytes/workgroup (compile time only)
; SGPRBlocks: 2
; VGPRBlocks: 1
; NumSGPRsForWavesPerEU: 20
; NumVGPRsForWavesPerEU: 8
; Occupancy: 10
; WaveLimiterHint : 1
; COMPUTE_PGM_RSRC2:SCRATCH_EN: 0
; COMPUTE_PGM_RSRC2:USER_SGPR: 6
; COMPUTE_PGM_RSRC2:TRAP_HANDLER: 0
; COMPUTE_PGM_RSRC2:TGID_X_EN: 1
; COMPUTE_PGM_RSRC2:TGID_Y_EN: 0
; COMPUTE_PGM_RSRC2:TGID_Z_EN: 0
; COMPUTE_PGM_RSRC2:TIDIG_COMP_CNT: 0
	.section	.text._Z6kernelI20flag_heads_and_tailshLj256ELj4ELb0ELj100EEvPKT0_PS1_,"axG",@progbits,_Z6kernelI20flag_heads_and_tailshLj256ELj4ELb0ELj100EEvPKT0_PS1_,comdat
	.protected	_Z6kernelI20flag_heads_and_tailshLj256ELj4ELb0ELj100EEvPKT0_PS1_ ; -- Begin function _Z6kernelI20flag_heads_and_tailshLj256ELj4ELb0ELj100EEvPKT0_PS1_
	.globl	_Z6kernelI20flag_heads_and_tailshLj256ELj4ELb0ELj100EEvPKT0_PS1_
	.p2align	8
	.type	_Z6kernelI20flag_heads_and_tailshLj256ELj4ELb0ELj100EEvPKT0_PS1_,@function
_Z6kernelI20flag_heads_and_tailshLj256ELj4ELb0ELj100EEvPKT0_PS1_: ; @_Z6kernelI20flag_heads_and_tailshLj256ELj4ELb0ELj100EEvPKT0_PS1_
; %bb.0:
	s_load_dwordx4 s[8:11], s[4:5], 0x0
	s_lshl_b32 s12, s6, 10
	s_mov_b32 s2, 0xc0c0004
	s_movk_i32 s13, 0xff
	v_cmp_ne_u32_e32 vcc, 0, v0
	s_waitcnt lgkmcnt(0)
	s_add_u32 s0, s8, s12
	s_addc_u32 s1, s9, 0
	global_load_ubyte v1, v0, s[0:1] offset:256
	global_load_ubyte v3, v0, s[0:1] offset:512
	global_load_ubyte v4, v0, s[0:1]
	global_load_ubyte v5, v0, s[0:1] offset:768
	v_cmp_ne_u32_e64 s[0:1], s13, v0
	v_add_u32_e32 v2, -1, v0
	s_movk_i32 s14, 0x64
	s_waitcnt vmcnt(1)
	v_perm_b32 v1, v4, v1, s2
	s_waitcnt vmcnt(0)
	v_perm_b32 v3, v3, v5, s2
	v_lshl_or_b32 v1, v3, 16, v1
	s_branch .LBB103_2
.LBB103_1:                              ;   in Loop: Header=BB103_2 Depth=1
	s_or_b64 exec, exec, s[4:5]
	v_add_u16_sdwa v9, v7, v1 dst_sel:DWORD dst_unused:UNUSED_PAD src0_sel:DWORD src1_sel:WORD_1
	v_add_u16_sdwa v10, v8, v1 dst_sel:DWORD dst_unused:UNUSED_PAD src0_sel:DWORD src1_sel:BYTE_1
	v_add_u16_e32 v1, v5, v1
	v_add_u16_e32 v3, v6, v3
	;; [unrolled: 1-line block ×3, first 2 shown]
	v_add_u16_sdwa v5, v10, v7 dst_sel:BYTE_1 dst_unused:UNUSED_PAD src0_sel:DWORD src1_sel:DWORD
	v_or_b32_sdwa v1, v1, v5 dst_sel:DWORD dst_unused:UNUSED_PAD src0_sel:BYTE_0 src1_sel:DWORD
	v_add_u16_e32 v5, v9, v6
	v_add_u16_sdwa v3, v3, v4 dst_sel:BYTE_1 dst_unused:UNUSED_PAD src0_sel:DWORD src1_sel:DWORD
	v_or_b32_sdwa v3, v5, v3 dst_sel:WORD_1 dst_unused:UNUSED_PAD src0_sel:BYTE_0 src1_sel:DWORD
	s_add_i32 s14, s14, -1
	v_or_b32_sdwa v1, v1, v3 dst_sel:DWORD dst_unused:UNUSED_PAD src0_sel:WORD_0 src1_sel:DWORD
	s_cmp_lg_u32 s14, 0
	s_barrier
	s_cbranch_scc0 .LBB103_6
.LBB103_2:                              ; =>This Inner Loop Header: Depth=1
	v_lshrrev_b32_e32 v3, 24, v1
	v_and_b32_sdwa v4, v1, s13 dst_sel:DWORD dst_unused:UNUSED_PAD src0_sel:WORD_1 src1_sel:DWORD
	v_lshrrev_b32_e32 v5, 8, v1
	v_cmp_eq_u16_e64 s[2:3], v4, v3
	v_cmp_eq_u16_sdwa s[4:5], v5, v4 src0_sel:BYTE_0 src1_sel:DWORD
	v_cmp_eq_u16_sdwa s[6:7], v1, v5 src0_sel:BYTE_0 src1_sel:BYTE_0
	v_mov_b32_e32 v4, 1
	v_mov_b32_e32 v5, 1
	ds_write_b8 v0, v3
	s_waitcnt lgkmcnt(0)
	s_barrier
	s_and_saveexec_b64 s[8:9], vcc
	s_cbranch_execz .LBB103_4
; %bb.3:                                ;   in Loop: Header=BB103_2 Depth=1
	ds_read_u8 v5, v2
	s_waitcnt lgkmcnt(0)
	v_cmp_eq_u16_sdwa s[16:17], v5, v1 src0_sel:DWORD src1_sel:BYTE_0
	v_cndmask_b32_e64 v5, 0, 1, s[16:17]
.LBB103_4:                              ;   in Loop: Header=BB103_2 Depth=1
	s_or_b64 exec, exec, s[8:9]
	v_cndmask_b32_e64 v6, 0, 1, s[2:3]
	v_cndmask_b32_e64 v7, 0, 1, s[4:5]
	v_cndmask_b32_e64 v8, 0, 1, s[6:7]
	ds_write_b8 v0, v1 offset:256
	s_waitcnt lgkmcnt(0)
	s_barrier
	s_and_saveexec_b64 s[4:5], s[0:1]
	s_cbranch_execz .LBB103_1
; %bb.5:                                ;   in Loop: Header=BB103_2 Depth=1
	ds_read_u8 v4, v0 offset:257
	s_waitcnt lgkmcnt(0)
	v_cmp_eq_u16_e64 s[2:3], v3, v4
	v_cndmask_b32_e64 v4, 0, 1, s[2:3]
	s_branch .LBB103_1
.LBB103_6:
	s_add_u32 s0, s10, s12
	s_addc_u32 s1, s11, 0
	v_mov_b32_e32 v3, s1
	v_add_co_u32_e32 v2, vcc, s0, v0
	v_addc_co_u32_e32 v3, vcc, 0, v3, vcc
	v_lshrrev_b32_e32 v0, 8, v1
	global_store_byte v[2:3], v1, off
	global_store_byte v[2:3], v0, off offset:256
	global_store_byte_d16_hi v[2:3], v1, off offset:512
	v_lshrrev_b32_e32 v0, 24, v1
	global_store_byte v[2:3], v0, off offset:768
	s_endpgm
	.section	.rodata,"a",@progbits
	.p2align	6, 0x0
	.amdhsa_kernel _Z6kernelI20flag_heads_and_tailshLj256ELj4ELb0ELj100EEvPKT0_PS1_
		.amdhsa_group_segment_fixed_size 512
		.amdhsa_private_segment_fixed_size 0
		.amdhsa_kernarg_size 16
		.amdhsa_user_sgpr_count 6
		.amdhsa_user_sgpr_private_segment_buffer 1
		.amdhsa_user_sgpr_dispatch_ptr 0
		.amdhsa_user_sgpr_queue_ptr 0
		.amdhsa_user_sgpr_kernarg_segment_ptr 1
		.amdhsa_user_sgpr_dispatch_id 0
		.amdhsa_user_sgpr_flat_scratch_init 0
		.amdhsa_user_sgpr_private_segment_size 0
		.amdhsa_uses_dynamic_stack 0
		.amdhsa_system_sgpr_private_segment_wavefront_offset 0
		.amdhsa_system_sgpr_workgroup_id_x 1
		.amdhsa_system_sgpr_workgroup_id_y 0
		.amdhsa_system_sgpr_workgroup_id_z 0
		.amdhsa_system_sgpr_workgroup_info 0
		.amdhsa_system_vgpr_workitem_id 0
		.amdhsa_next_free_vgpr 11
		.amdhsa_next_free_sgpr 18
		.amdhsa_reserve_vcc 1
		.amdhsa_reserve_flat_scratch 0
		.amdhsa_float_round_mode_32 0
		.amdhsa_float_round_mode_16_64 0
		.amdhsa_float_denorm_mode_32 3
		.amdhsa_float_denorm_mode_16_64 3
		.amdhsa_dx10_clamp 1
		.amdhsa_ieee_mode 1
		.amdhsa_fp16_overflow 0
		.amdhsa_exception_fp_ieee_invalid_op 0
		.amdhsa_exception_fp_denorm_src 0
		.amdhsa_exception_fp_ieee_div_zero 0
		.amdhsa_exception_fp_ieee_overflow 0
		.amdhsa_exception_fp_ieee_underflow 0
		.amdhsa_exception_fp_ieee_inexact 0
		.amdhsa_exception_int_div_zero 0
	.end_amdhsa_kernel
	.section	.text._Z6kernelI20flag_heads_and_tailshLj256ELj4ELb0ELj100EEvPKT0_PS1_,"axG",@progbits,_Z6kernelI20flag_heads_and_tailshLj256ELj4ELb0ELj100EEvPKT0_PS1_,comdat
.Lfunc_end103:
	.size	_Z6kernelI20flag_heads_and_tailshLj256ELj4ELb0ELj100EEvPKT0_PS1_, .Lfunc_end103-_Z6kernelI20flag_heads_and_tailshLj256ELj4ELb0ELj100EEvPKT0_PS1_
                                        ; -- End function
	.set _Z6kernelI20flag_heads_and_tailshLj256ELj4ELb0ELj100EEvPKT0_PS1_.num_vgpr, 11
	.set _Z6kernelI20flag_heads_and_tailshLj256ELj4ELb0ELj100EEvPKT0_PS1_.num_agpr, 0
	.set _Z6kernelI20flag_heads_and_tailshLj256ELj4ELb0ELj100EEvPKT0_PS1_.numbered_sgpr, 18
	.set _Z6kernelI20flag_heads_and_tailshLj256ELj4ELb0ELj100EEvPKT0_PS1_.num_named_barrier, 0
	.set _Z6kernelI20flag_heads_and_tailshLj256ELj4ELb0ELj100EEvPKT0_PS1_.private_seg_size, 0
	.set _Z6kernelI20flag_heads_and_tailshLj256ELj4ELb0ELj100EEvPKT0_PS1_.uses_vcc, 1
	.set _Z6kernelI20flag_heads_and_tailshLj256ELj4ELb0ELj100EEvPKT0_PS1_.uses_flat_scratch, 0
	.set _Z6kernelI20flag_heads_and_tailshLj256ELj4ELb0ELj100EEvPKT0_PS1_.has_dyn_sized_stack, 0
	.set _Z6kernelI20flag_heads_and_tailshLj256ELj4ELb0ELj100EEvPKT0_PS1_.has_recursion, 0
	.set _Z6kernelI20flag_heads_and_tailshLj256ELj4ELb0ELj100EEvPKT0_PS1_.has_indirect_call, 0
	.section	.AMDGPU.csdata,"",@progbits
; Kernel info:
; codeLenInByte = 464
; TotalNumSgprs: 22
; NumVgprs: 11
; ScratchSize: 0
; MemoryBound: 0
; FloatMode: 240
; IeeeMode: 1
; LDSByteSize: 512 bytes/workgroup (compile time only)
; SGPRBlocks: 2
; VGPRBlocks: 2
; NumSGPRsForWavesPerEU: 22
; NumVGPRsForWavesPerEU: 11
; Occupancy: 10
; WaveLimiterHint : 1
; COMPUTE_PGM_RSRC2:SCRATCH_EN: 0
; COMPUTE_PGM_RSRC2:USER_SGPR: 6
; COMPUTE_PGM_RSRC2:TRAP_HANDLER: 0
; COMPUTE_PGM_RSRC2:TGID_X_EN: 1
; COMPUTE_PGM_RSRC2:TGID_Y_EN: 0
; COMPUTE_PGM_RSRC2:TGID_Z_EN: 0
; COMPUTE_PGM_RSRC2:TIDIG_COMP_CNT: 0
	.section	.text._Z6kernelI20flag_heads_and_tailshLj256ELj8ELb0ELj100EEvPKT0_PS1_,"axG",@progbits,_Z6kernelI20flag_heads_and_tailshLj256ELj8ELb0ELj100EEvPKT0_PS1_,comdat
	.protected	_Z6kernelI20flag_heads_and_tailshLj256ELj8ELb0ELj100EEvPKT0_PS1_ ; -- Begin function _Z6kernelI20flag_heads_and_tailshLj256ELj8ELb0ELj100EEvPKT0_PS1_
	.globl	_Z6kernelI20flag_heads_and_tailshLj256ELj8ELb0ELj100EEvPKT0_PS1_
	.p2align	8
	.type	_Z6kernelI20flag_heads_and_tailshLj256ELj8ELb0ELj100EEvPKT0_PS1_,@function
_Z6kernelI20flag_heads_and_tailshLj256ELj8ELb0ELj100EEvPKT0_PS1_: ; @_Z6kernelI20flag_heads_and_tailshLj256ELj8ELb0ELj100EEvPKT0_PS1_
; %bb.0:
	s_load_dwordx4 s[8:11], s[4:5], 0x0
	s_lshl_b32 s6, s6, 11
	s_mov_b32 s2, 0xc0c0004
	s_movk_i32 s7, 0xff
	s_mov_b32 s12, 0x3020104
	s_waitcnt lgkmcnt(0)
	s_add_u32 s0, s8, s6
	s_addc_u32 s1, s9, 0
	global_load_ubyte v1, v0, s[0:1] offset:256
	global_load_ubyte v2, v0, s[0:1] offset:1536
	;; [unrolled: 1-line block ×4, first 2 shown]
	global_load_ubyte v6, v0, s[0:1]
	global_load_ubyte v7, v0, s[0:1] offset:768
	global_load_ubyte v8, v0, s[0:1] offset:1280
	;; [unrolled: 1-line block ×3, first 2 shown]
	s_movk_i32 s8, 0x64
	s_movk_i32 s9, 0x100
	v_cmp_ne_u32_e32 vcc, 0, v0
	v_cmp_ne_u32_e64 s[0:1], s7, v0
	v_add_u32_e32 v3, -1, v0
	s_waitcnt vmcnt(3)
	v_perm_b32 v1, v6, v1, s2
	s_waitcnt vmcnt(2)
	v_perm_b32 v5, v5, v7, s2
	;; [unrolled: 2-line block ×4, first 2 shown]
	v_lshl_or_b32 v5, v5, 16, v1
	v_lshl_or_b32 v6, v2, 16, v4
	v_mov_b32_e32 v4, 8
	s_branch .LBB104_2
.LBB104_1:                              ;   in Loop: Header=BB104_2 Depth=1
	s_or_b64 exec, exec, s[4:5]
	v_lshrrev_b32_e32 v7, 8, v2
	v_lshrrev_b32_e32 v12, 8, v1
	v_lshrrev_b64 v[10:11], 24, v[1:2]
	v_add_u16_e32 v11, v2, v6
	v_add_u16_sdwa v13, v7, v6 dst_sel:DWORD dst_unused:UNUSED_PAD src0_sel:DWORD src1_sel:BYTE_1
	v_add_u16_sdwa v7, v2, v6 dst_sel:DWORD dst_unused:UNUSED_PAD src0_sel:BYTE_3 src1_sel:BYTE_3
	v_add_u16_sdwa v6, v2, v6 dst_sel:DWORD dst_unused:UNUSED_PAD src0_sel:WORD_1 src1_sel:WORD_1
	v_add_u16_e32 v2, v1, v5
	v_add_u16_sdwa v12, v12, v5 dst_sel:DWORD dst_unused:UNUSED_PAD src0_sel:DWORD src1_sel:BYTE_1
	v_add_u16_sdwa v1, v1, v5 dst_sel:DWORD dst_unused:UNUSED_PAD src0_sel:WORD_1 src1_sel:WORD_1
	v_add_u16_sdwa v5, v10, v5 dst_sel:DWORD dst_unused:UNUSED_PAD src0_sel:DWORD src1_sel:BYTE_3
	v_add_u16_sdwa v10, v12, v8 dst_sel:BYTE_1 dst_unused:UNUSED_PAD src0_sel:DWORD src1_sel:BYTE_1
	v_add_u16_e32 v2, v2, v8
	v_or_b32_sdwa v2, v2, v10 dst_sel:DWORD dst_unused:UNUSED_PAD src0_sel:BYTE_0 src1_sel:DWORD
	v_add_u16_sdwa v6, v6, v9 dst_sel:DWORD dst_unused:UNUSED_PAD src0_sel:DWORD src1_sel:WORD_1
	v_add_u16_sdwa v10, v7, v9 dst_sel:BYTE_1 dst_unused:UNUSED_PAD src0_sel:DWORD src1_sel:BYTE_3
	v_add_u16_sdwa v5, v5, v8 dst_sel:BYTE_1 dst_unused:UNUSED_PAD src0_sel:DWORD src1_sel:BYTE_3
	v_add_u16_sdwa v1, v1, v8 dst_sel:DWORD dst_unused:UNUSED_PAD src0_sel:DWORD src1_sel:WORD_1
	v_or_b32_sdwa v7, v6, v10 dst_sel:DWORD dst_unused:UNUSED_PAD src0_sel:BYTE_0 src1_sel:DWORD
	v_add_u16_sdwa v6, v13, v9 dst_sel:BYTE_1 dst_unused:UNUSED_PAD src0_sel:DWORD src1_sel:BYTE_1
	v_add_u16_e32 v8, v11, v9
	v_or_b32_sdwa v8, v8, v6 dst_sel:DWORD dst_unused:UNUSED_PAD src0_sel:BYTE_0 src1_sel:DWORD
	v_or_b32_sdwa v1, v1, v5 dst_sel:DWORD dst_unused:UNUSED_PAD src0_sel:BYTE_0 src1_sel:DWORD
	v_lshrrev_b32_sdwa v6, v4, v10 dst_sel:BYTE_1 dst_unused:UNUSED_PAD src0_sel:DWORD src1_sel:DWORD
	v_lshrrev_b32_sdwa v9, v4, v8 dst_sel:BYTE_1 dst_unused:UNUSED_PAD src0_sel:DWORD src1_sel:WORD_0
	v_lshrrev_b32_sdwa v10, v4, v2 dst_sel:BYTE_1 dst_unused:UNUSED_PAD src0_sel:DWORD src1_sel:WORD_0
	v_lshrrev_b32_sdwa v5, v4, v5 dst_sel:BYTE_1 dst_unused:UNUSED_PAD src0_sel:DWORD src1_sel:DWORD
	v_or_b32_sdwa v10, v2, v10 dst_sel:DWORD dst_unused:UNUSED_PAD src0_sel:BYTE_0 src1_sel:DWORD
	v_or_b32_sdwa v5, v1, v5 dst_sel:WORD_1 dst_unused:UNUSED_PAD src0_sel:BYTE_0 src1_sel:DWORD
	v_or_b32_sdwa v9, v8, v9 dst_sel:DWORD dst_unused:UNUSED_PAD src0_sel:BYTE_0 src1_sel:DWORD
	v_or_b32_sdwa v6, v7, v6 dst_sel:WORD_1 dst_unused:UNUSED_PAD src0_sel:BYTE_0 src1_sel:DWORD
	s_add_i32 s8, s8, -1
	v_or_b32_sdwa v5, v10, v5 dst_sel:DWORD dst_unused:UNUSED_PAD src0_sel:WORD_0 src1_sel:DWORD
	s_cmp_lg_u32 s8, 0
	v_or_b32_sdwa v6, v9, v6 dst_sel:DWORD dst_unused:UNUSED_PAD src0_sel:WORD_0 src1_sel:DWORD
	s_barrier
	s_cbranch_scc0 .LBB104_6
.LBB104_2:                              ; =>This Inner Loop Header: Depth=1
	v_cmp_eq_u16_sdwa s[2:3], v6, v6 src0_sel:BYTE_0 src1_sel:BYTE_1
	v_and_b32_sdwa v1, v6, s7 dst_sel:DWORD dst_unused:UNUSED_PAD src0_sel:WORD_1 src1_sel:DWORD
	v_lshrrev_b32_e32 v7, 24, v6
	v_cndmask_b32_e64 v10, 0, 1, s[2:3]
	v_cmp_eq_u16_sdwa s[2:3], v5, v6 src0_sel:BYTE_3 src1_sel:BYTE_0
	v_lshrrev_b32_e32 v2, 8, v6
	v_lshlrev_b16_e32 v10, 8, v10
	v_cndmask_b32_e64 v11, 0, 1, s[2:3]
	v_cmp_eq_u16_e64 s[2:3], v1, v7
	v_or_b32_e32 v10, v11, v10
	v_cndmask_b32_e64 v11, 0, 1, s[2:3]
	v_cmp_eq_u16_sdwa s[2:3], v2, v1 src0_sel:BYTE_0 src1_sel:DWORD
	v_and_b32_sdwa v8, v5, s7 dst_sel:DWORD dst_unused:UNUSED_PAD src0_sel:WORD_1 src1_sel:DWORD
	v_lshlrev_b16_e32 v11, 8, v11
	v_cndmask_b32_e64 v1, 0, 1, s[2:3]
	v_lshrrev_b32_e32 v9, 8, v5
	v_or_b32_sdwa v1, v1, v11 dst_sel:WORD_1 dst_unused:UNUSED_PAD src0_sel:DWORD src1_sel:DWORD
	v_cmp_eq_u16_sdwa s[2:3], v8, v5 src0_sel:DWORD src1_sel:BYTE_3
	v_or_b32_sdwa v2, v10, v1 dst_sel:DWORD dst_unused:UNUSED_PAD src0_sel:WORD_0 src1_sel:DWORD
	v_cndmask_b32_e64 v10, 0, 1, s[2:3]
	v_cmp_eq_u16_sdwa s[2:3], v9, v8 src0_sel:BYTE_0 src1_sel:DWORD
	v_cndmask_b32_e64 v8, 0, 1, s[2:3]
	v_cmp_eq_u16_sdwa s[2:3], v5, v9 src0_sel:BYTE_0 src1_sel:BYTE_0
	v_cndmask_b32_e64 v9, 0, 1, s[2:3]
	v_lshlrev_b16_e32 v1, 8, v10
	v_or_b32_e32 v11, v8, v1
	v_lshlrev_b16_e32 v12, 8, v9
	v_or_b32_e32 v12, 1, v12
	v_and_b32_e32 v13, 1, v11
	v_lshrrev_b32_sdwa v1, v4, v1 dst_sel:BYTE_1 dst_unused:UNUSED_PAD src0_sel:DWORD src1_sel:DWORD
	v_or_b32_sdwa v1, v13, v1 dst_sel:WORD_1 dst_unused:UNUSED_PAD src0_sel:DWORD src1_sel:DWORD
	v_lshrrev_b32_sdwa v13, v4, v12 dst_sel:BYTE_1 dst_unused:UNUSED_PAD src0_sel:DWORD src1_sel:WORD_0
	v_or_b32_e32 v13, 1, v13
	v_or_b32_sdwa v1, v13, v1 dst_sel:DWORD dst_unused:UNUSED_PAD src0_sel:WORD_0 src1_sel:DWORD
	ds_write_b8 v0, v7
	s_waitcnt lgkmcnt(0)
	s_barrier
	s_and_saveexec_b64 s[2:3], vcc
	s_cbranch_execz .LBB104_4
; %bb.3:                                ;   in Loop: Header=BB104_2 Depth=1
	ds_read_u8 v1, v3
	v_lshlrev_b32_e32 v11, 16, v11
	v_or_b32_sdwa v11, v12, v11 dst_sel:DWORD dst_unused:UNUSED_PAD src0_sel:WORD_0 src1_sel:DWORD
	v_lshrrev_b32_sdwa v12, v4, v11 dst_sel:BYTE_1 dst_unused:UNUSED_PAD src0_sel:DWORD src1_sel:DWORD
	s_waitcnt lgkmcnt(0)
	v_cmp_eq_u16_sdwa s[4:5], v1, v5 src0_sel:DWORD src1_sel:BYTE_0
	v_cndmask_b32_e64 v1, 0, 1, s[4:5]
	v_or_b32_e32 v1, v1, v12
	v_lshrrev_b32_e32 v12, 24, v11
	v_lshlrev_b16_e32 v12, 8, v12
	v_and_b32_sdwa v11, v11, s7 dst_sel:DWORD dst_unused:UNUSED_PAD src0_sel:WORD_1 src1_sel:DWORD
	v_or_b32_sdwa v11, v11, v12 dst_sel:WORD_1 dst_unused:UNUSED_PAD src0_sel:DWORD src1_sel:DWORD
	v_or_b32_sdwa v1, v1, v11 dst_sel:DWORD dst_unused:UNUSED_PAD src0_sel:WORD_0 src1_sel:DWORD
.LBB104_4:                              ;   in Loop: Header=BB104_2 Depth=1
	s_or_b64 exec, exec, s[2:3]
	v_lshrrev_b32_e32 v11, 16, v2
	v_lshlrev_b16_e32 v8, 8, v8
	v_lshlrev_b16_e32 v11, 8, v11
	;; [unrolled: 1-line block ×3, first 2 shown]
	v_or_b32_e32 v13, v9, v8
	v_or_b32_sdwa v11, v2, v11 dst_sel:DWORD dst_unused:UNUSED_PAD src0_sel:BYTE_1 src1_sel:DWORD
	v_or_b32_e32 v10, v10, v14
	v_and_b32_e32 v8, 1, v13
	v_lshrrev_b32_sdwa v15, v4, v13 dst_sel:BYTE_1 dst_unused:UNUSED_PAD src0_sel:DWORD src1_sel:WORD_0
	v_lshrrev_b32_sdwa v9, v4, v11 dst_sel:BYTE_1 dst_unused:UNUSED_PAD src0_sel:DWORD src1_sel:WORD_0
	v_or_b32_e32 v8, v8, v15
	v_and_b32_e32 v15, 1, v10
	v_lshrrev_b32_sdwa v14, v4, v14 dst_sel:BYTE_1 dst_unused:UNUSED_PAD src0_sel:DWORD src1_sel:DWORD
	v_or_b32_sdwa v12, v2, s9 dst_sel:WORD_1 dst_unused:UNUSED_PAD src0_sel:BYTE_3 src1_sel:DWORD
	v_or_b32_sdwa v14, v15, v14 dst_sel:WORD_1 dst_unused:UNUSED_PAD src0_sel:DWORD src1_sel:DWORD
	v_or_b32_sdwa v9, v11, v9 dst_sel:DWORD dst_unused:UNUSED_PAD src0_sel:BYTE_0 src1_sel:DWORD
	v_or_b32_sdwa v8, v8, v14 dst_sel:DWORD dst_unused:UNUSED_PAD src0_sel:WORD_0 src1_sel:DWORD
	v_or_b32_sdwa v9, v9, v12 dst_sel:DWORD dst_unused:UNUSED_PAD src0_sel:WORD_0 src1_sel:DWORD
	ds_write_b8 v0, v5 offset:256
	s_waitcnt lgkmcnt(0)
	s_barrier
	s_and_saveexec_b64 s[4:5], s[0:1]
	s_cbranch_execz .LBB104_1
; %bb.5:                                ;   in Loop: Header=BB104_2 Depth=1
	ds_read_u8 v8, v0 offset:257
	v_lshlrev_b32_e32 v9, 16, v10
	v_or_b32_sdwa v10, v11, v12 dst_sel:DWORD dst_unused:UNUSED_PAD src0_sel:WORD_0 src1_sel:DWORD
	v_or_b32_sdwa v9, v13, v9 dst_sel:DWORD dst_unused:UNUSED_PAD src0_sel:WORD_0 src1_sel:DWORD
	s_waitcnt lgkmcnt(0)
	v_cmp_eq_u16_e64 s[2:3], v7, v8
	v_cndmask_b32_e64 v7, 0, 1, s[2:3]
	v_perm_b32 v8, v9, v9, s12
	v_lshrrev_b32_sdwa v9, v4, v10 dst_sel:BYTE_1 dst_unused:UNUSED_PAD src0_sel:DWORD src1_sel:DWORD
	v_or_b32_sdwa v9, v10, v9 dst_sel:DWORD dst_unused:UNUSED_PAD src0_sel:BYTE_0 src1_sel:DWORD
	v_lshlrev_b16_e32 v7, 8, v7
	v_and_b32_sdwa v10, v10, s7 dst_sel:DWORD dst_unused:UNUSED_PAD src0_sel:WORD_1 src1_sel:DWORD
	v_or_b32_sdwa v7, v10, v7 dst_sel:WORD_1 dst_unused:UNUSED_PAD src0_sel:DWORD src1_sel:DWORD
	v_or_b32_sdwa v9, v9, v7 dst_sel:DWORD dst_unused:UNUSED_PAD src0_sel:WORD_0 src1_sel:DWORD
	s_branch .LBB104_1
.LBB104_6:
	v_lshlrev_b32_e32 v1, 16, v1
	s_add_u32 s0, s10, s6
	v_or_b32_sdwa v2, v2, v1 dst_sel:DWORD dst_unused:UNUSED_PAD src0_sel:WORD_0 src1_sel:DWORD
	v_lshlrev_b32_e32 v1, 16, v7
	s_addc_u32 s1, s11, 0
	v_or_b32_sdwa v3, v8, v1 dst_sel:DWORD dst_unused:UNUSED_PAD src0_sel:WORD_0 src1_sel:DWORD
	v_mov_b32_e32 v1, s1
	v_add_co_u32_e32 v0, vcc, s0, v0
	v_addc_co_u32_e32 v1, vcc, 0, v1, vcc
	v_lshrrev_b32_e32 v4, 8, v2
	global_store_byte v[0:1], v2, off
	global_store_byte v[0:1], v4, off offset:256
	global_store_byte_d16_hi v[0:1], v2, off offset:512
	v_lshrrev_b32_e32 v2, 24, v2
	global_store_byte v[0:1], v2, off offset:768
	global_store_byte v[0:1], v3, off offset:1024
	v_lshrrev_b32_e32 v2, 8, v3
	global_store_byte v[0:1], v2, off offset:1280
	global_store_byte_d16_hi v[0:1], v3, off offset:1536
	v_lshrrev_b32_e32 v2, 24, v3
	global_store_byte v[0:1], v2, off offset:1792
	s_endpgm
	.section	.rodata,"a",@progbits
	.p2align	6, 0x0
	.amdhsa_kernel _Z6kernelI20flag_heads_and_tailshLj256ELj8ELb0ELj100EEvPKT0_PS1_
		.amdhsa_group_segment_fixed_size 512
		.amdhsa_private_segment_fixed_size 0
		.amdhsa_kernarg_size 16
		.amdhsa_user_sgpr_count 6
		.amdhsa_user_sgpr_private_segment_buffer 1
		.amdhsa_user_sgpr_dispatch_ptr 0
		.amdhsa_user_sgpr_queue_ptr 0
		.amdhsa_user_sgpr_kernarg_segment_ptr 1
		.amdhsa_user_sgpr_dispatch_id 0
		.amdhsa_user_sgpr_flat_scratch_init 0
		.amdhsa_user_sgpr_private_segment_size 0
		.amdhsa_uses_dynamic_stack 0
		.amdhsa_system_sgpr_private_segment_wavefront_offset 0
		.amdhsa_system_sgpr_workgroup_id_x 1
		.amdhsa_system_sgpr_workgroup_id_y 0
		.amdhsa_system_sgpr_workgroup_id_z 0
		.amdhsa_system_sgpr_workgroup_info 0
		.amdhsa_system_vgpr_workitem_id 0
		.amdhsa_next_free_vgpr 16
		.amdhsa_next_free_sgpr 13
		.amdhsa_reserve_vcc 1
		.amdhsa_reserve_flat_scratch 0
		.amdhsa_float_round_mode_32 0
		.amdhsa_float_round_mode_16_64 0
		.amdhsa_float_denorm_mode_32 3
		.amdhsa_float_denorm_mode_16_64 3
		.amdhsa_dx10_clamp 1
		.amdhsa_ieee_mode 1
		.amdhsa_fp16_overflow 0
		.amdhsa_exception_fp_ieee_invalid_op 0
		.amdhsa_exception_fp_denorm_src 0
		.amdhsa_exception_fp_ieee_div_zero 0
		.amdhsa_exception_fp_ieee_overflow 0
		.amdhsa_exception_fp_ieee_underflow 0
		.amdhsa_exception_fp_ieee_inexact 0
		.amdhsa_exception_int_div_zero 0
	.end_amdhsa_kernel
	.section	.text._Z6kernelI20flag_heads_and_tailshLj256ELj8ELb0ELj100EEvPKT0_PS1_,"axG",@progbits,_Z6kernelI20flag_heads_and_tailshLj256ELj8ELb0ELj100EEvPKT0_PS1_,comdat
.Lfunc_end104:
	.size	_Z6kernelI20flag_heads_and_tailshLj256ELj8ELb0ELj100EEvPKT0_PS1_, .Lfunc_end104-_Z6kernelI20flag_heads_and_tailshLj256ELj8ELb0ELj100EEvPKT0_PS1_
                                        ; -- End function
	.set _Z6kernelI20flag_heads_and_tailshLj256ELj8ELb0ELj100EEvPKT0_PS1_.num_vgpr, 16
	.set _Z6kernelI20flag_heads_and_tailshLj256ELj8ELb0ELj100EEvPKT0_PS1_.num_agpr, 0
	.set _Z6kernelI20flag_heads_and_tailshLj256ELj8ELb0ELj100EEvPKT0_PS1_.numbered_sgpr, 13
	.set _Z6kernelI20flag_heads_and_tailshLj256ELj8ELb0ELj100EEvPKT0_PS1_.num_named_barrier, 0
	.set _Z6kernelI20flag_heads_and_tailshLj256ELj8ELb0ELj100EEvPKT0_PS1_.private_seg_size, 0
	.set _Z6kernelI20flag_heads_and_tailshLj256ELj8ELb0ELj100EEvPKT0_PS1_.uses_vcc, 1
	.set _Z6kernelI20flag_heads_and_tailshLj256ELj8ELb0ELj100EEvPKT0_PS1_.uses_flat_scratch, 0
	.set _Z6kernelI20flag_heads_and_tailshLj256ELj8ELb0ELj100EEvPKT0_PS1_.has_dyn_sized_stack, 0
	.set _Z6kernelI20flag_heads_and_tailshLj256ELj8ELb0ELj100EEvPKT0_PS1_.has_recursion, 0
	.set _Z6kernelI20flag_heads_and_tailshLj256ELj8ELb0ELj100EEvPKT0_PS1_.has_indirect_call, 0
	.section	.AMDGPU.csdata,"",@progbits
; Kernel info:
; codeLenInByte = 1164
; TotalNumSgprs: 17
; NumVgprs: 16
; ScratchSize: 0
; MemoryBound: 0
; FloatMode: 240
; IeeeMode: 1
; LDSByteSize: 512 bytes/workgroup (compile time only)
; SGPRBlocks: 2
; VGPRBlocks: 3
; NumSGPRsForWavesPerEU: 17
; NumVGPRsForWavesPerEU: 16
; Occupancy: 10
; WaveLimiterHint : 1
; COMPUTE_PGM_RSRC2:SCRATCH_EN: 0
; COMPUTE_PGM_RSRC2:USER_SGPR: 6
; COMPUTE_PGM_RSRC2:TRAP_HANDLER: 0
; COMPUTE_PGM_RSRC2:TGID_X_EN: 1
; COMPUTE_PGM_RSRC2:TGID_Y_EN: 0
; COMPUTE_PGM_RSRC2:TGID_Z_EN: 0
; COMPUTE_PGM_RSRC2:TIDIG_COMP_CNT: 0
	.section	.text._Z6kernelI20flag_heads_and_tailshLj256ELj1ELb1ELj100EEvPKT0_PS1_,"axG",@progbits,_Z6kernelI20flag_heads_and_tailshLj256ELj1ELb1ELj100EEvPKT0_PS1_,comdat
	.protected	_Z6kernelI20flag_heads_and_tailshLj256ELj1ELb1ELj100EEvPKT0_PS1_ ; -- Begin function _Z6kernelI20flag_heads_and_tailshLj256ELj1ELb1ELj100EEvPKT0_PS1_
	.globl	_Z6kernelI20flag_heads_and_tailshLj256ELj1ELb1ELj100EEvPKT0_PS1_
	.p2align	8
	.type	_Z6kernelI20flag_heads_and_tailshLj256ELj1ELb1ELj100EEvPKT0_PS1_,@function
_Z6kernelI20flag_heads_and_tailshLj256ELj1ELb1ELj100EEvPKT0_PS1_: ; @_Z6kernelI20flag_heads_and_tailshLj256ELj1ELb1ELj100EEvPKT0_PS1_
; %bb.0:
	s_load_dwordx4 s[0:3], s[4:5], 0x0
	s_lshl_b32 s6, s6, 8
	v_cmp_ne_u32_e32 vcc, 0, v0
	v_add_u32_e32 v2, -1, v0
	s_movk_i32 s7, 0x64
	s_waitcnt lgkmcnt(0)
	s_add_u32 s0, s0, s6
	s_addc_u32 s1, s1, 0
	global_load_ubyte v1, v0, s[0:1]
	s_movk_i32 s0, 0xff
	v_cmp_ne_u32_e64 s[0:1], s0, v0
	s_branch .LBB105_2
.LBB105_1:                              ;   in Loop: Header=BB105_2 Depth=1
	s_or_b64 exec, exec, s[4:5]
	v_cmp_eq_u16_sdwa s[4:5], v3, v1 src0_sel:BYTE_0 src1_sel:BYTE_0
	v_cndmask_b32_e64 v3, 0, 1, s[4:5]
	s_waitcnt lgkmcnt(0)
	v_cmp_eq_u16_sdwa s[4:5], v1, v4 src0_sel:BYTE_0 src1_sel:BYTE_0
	v_cndmask_b32_e64 v4, 0, 1, s[4:5]
	v_add_u16_e32 v1, v1, v3
	s_add_i32 s7, s7, -1
	v_add_u16_e32 v1, v1, v4
	s_cmp_lg_u32 s7, 0
	s_barrier
	s_cbranch_scc0 .LBB105_6
.LBB105_2:                              ; =>This Inner Loop Header: Depth=1
	v_mov_b32_e32 v3, 0x7b
	s_waitcnt vmcnt(0)
	ds_write_b8 v0, v1
	s_waitcnt lgkmcnt(0)
	s_barrier
	s_and_saveexec_b64 s[4:5], vcc
; %bb.3:                                ;   in Loop: Header=BB105_2 Depth=1
	ds_read_u8 v3, v2
; %bb.4:                                ;   in Loop: Header=BB105_2 Depth=1
	s_or_b64 exec, exec, s[4:5]
	v_mov_b32_e32 v4, 0xea
	ds_write_b8 v0, v1 offset:256
	s_waitcnt lgkmcnt(0)
	s_barrier
	s_and_saveexec_b64 s[4:5], s[0:1]
	s_cbranch_execz .LBB105_1
; %bb.5:                                ;   in Loop: Header=BB105_2 Depth=1
	ds_read_u8 v4, v0 offset:257
	s_branch .LBB105_1
.LBB105_6:
	s_add_u32 s0, s2, s6
	s_addc_u32 s1, s3, 0
	v_mov_b32_e32 v3, s1
	v_add_co_u32_e32 v2, vcc, s0, v0
	v_addc_co_u32_e32 v3, vcc, 0, v3, vcc
	global_store_byte v[2:3], v1, off
	s_endpgm
	.section	.rodata,"a",@progbits
	.p2align	6, 0x0
	.amdhsa_kernel _Z6kernelI20flag_heads_and_tailshLj256ELj1ELb1ELj100EEvPKT0_PS1_
		.amdhsa_group_segment_fixed_size 512
		.amdhsa_private_segment_fixed_size 0
		.amdhsa_kernarg_size 16
		.amdhsa_user_sgpr_count 6
		.amdhsa_user_sgpr_private_segment_buffer 1
		.amdhsa_user_sgpr_dispatch_ptr 0
		.amdhsa_user_sgpr_queue_ptr 0
		.amdhsa_user_sgpr_kernarg_segment_ptr 1
		.amdhsa_user_sgpr_dispatch_id 0
		.amdhsa_user_sgpr_flat_scratch_init 0
		.amdhsa_user_sgpr_private_segment_size 0
		.amdhsa_uses_dynamic_stack 0
		.amdhsa_system_sgpr_private_segment_wavefront_offset 0
		.amdhsa_system_sgpr_workgroup_id_x 1
		.amdhsa_system_sgpr_workgroup_id_y 0
		.amdhsa_system_sgpr_workgroup_id_z 0
		.amdhsa_system_sgpr_workgroup_info 0
		.amdhsa_system_vgpr_workitem_id 0
		.amdhsa_next_free_vgpr 5
		.amdhsa_next_free_sgpr 8
		.amdhsa_reserve_vcc 1
		.amdhsa_reserve_flat_scratch 0
		.amdhsa_float_round_mode_32 0
		.amdhsa_float_round_mode_16_64 0
		.amdhsa_float_denorm_mode_32 3
		.amdhsa_float_denorm_mode_16_64 3
		.amdhsa_dx10_clamp 1
		.amdhsa_ieee_mode 1
		.amdhsa_fp16_overflow 0
		.amdhsa_exception_fp_ieee_invalid_op 0
		.amdhsa_exception_fp_denorm_src 0
		.amdhsa_exception_fp_ieee_div_zero 0
		.amdhsa_exception_fp_ieee_overflow 0
		.amdhsa_exception_fp_ieee_underflow 0
		.amdhsa_exception_fp_ieee_inexact 0
		.amdhsa_exception_int_div_zero 0
	.end_amdhsa_kernel
	.section	.text._Z6kernelI20flag_heads_and_tailshLj256ELj1ELb1ELj100EEvPKT0_PS1_,"axG",@progbits,_Z6kernelI20flag_heads_and_tailshLj256ELj1ELb1ELj100EEvPKT0_PS1_,comdat
.Lfunc_end105:
	.size	_Z6kernelI20flag_heads_and_tailshLj256ELj1ELb1ELj100EEvPKT0_PS1_, .Lfunc_end105-_Z6kernelI20flag_heads_and_tailshLj256ELj1ELb1ELj100EEvPKT0_PS1_
                                        ; -- End function
	.set _Z6kernelI20flag_heads_and_tailshLj256ELj1ELb1ELj100EEvPKT0_PS1_.num_vgpr, 5
	.set _Z6kernelI20flag_heads_and_tailshLj256ELj1ELb1ELj100EEvPKT0_PS1_.num_agpr, 0
	.set _Z6kernelI20flag_heads_and_tailshLj256ELj1ELb1ELj100EEvPKT0_PS1_.numbered_sgpr, 8
	.set _Z6kernelI20flag_heads_and_tailshLj256ELj1ELb1ELj100EEvPKT0_PS1_.num_named_barrier, 0
	.set _Z6kernelI20flag_heads_and_tailshLj256ELj1ELb1ELj100EEvPKT0_PS1_.private_seg_size, 0
	.set _Z6kernelI20flag_heads_and_tailshLj256ELj1ELb1ELj100EEvPKT0_PS1_.uses_vcc, 1
	.set _Z6kernelI20flag_heads_and_tailshLj256ELj1ELb1ELj100EEvPKT0_PS1_.uses_flat_scratch, 0
	.set _Z6kernelI20flag_heads_and_tailshLj256ELj1ELb1ELj100EEvPKT0_PS1_.has_dyn_sized_stack, 0
	.set _Z6kernelI20flag_heads_and_tailshLj256ELj1ELb1ELj100EEvPKT0_PS1_.has_recursion, 0
	.set _Z6kernelI20flag_heads_and_tailshLj256ELj1ELb1ELj100EEvPKT0_PS1_.has_indirect_call, 0
	.section	.AMDGPU.csdata,"",@progbits
; Kernel info:
; codeLenInByte = 244
; TotalNumSgprs: 12
; NumVgprs: 5
; ScratchSize: 0
; MemoryBound: 0
; FloatMode: 240
; IeeeMode: 1
; LDSByteSize: 512 bytes/workgroup (compile time only)
; SGPRBlocks: 1
; VGPRBlocks: 1
; NumSGPRsForWavesPerEU: 12
; NumVGPRsForWavesPerEU: 5
; Occupancy: 10
; WaveLimiterHint : 0
; COMPUTE_PGM_RSRC2:SCRATCH_EN: 0
; COMPUTE_PGM_RSRC2:USER_SGPR: 6
; COMPUTE_PGM_RSRC2:TRAP_HANDLER: 0
; COMPUTE_PGM_RSRC2:TGID_X_EN: 1
; COMPUTE_PGM_RSRC2:TGID_Y_EN: 0
; COMPUTE_PGM_RSRC2:TGID_Z_EN: 0
; COMPUTE_PGM_RSRC2:TIDIG_COMP_CNT: 0
	.section	.text._Z6kernelI20flag_heads_and_tailshLj256ELj2ELb1ELj100EEvPKT0_PS1_,"axG",@progbits,_Z6kernelI20flag_heads_and_tailshLj256ELj2ELb1ELj100EEvPKT0_PS1_,comdat
	.protected	_Z6kernelI20flag_heads_and_tailshLj256ELj2ELb1ELj100EEvPKT0_PS1_ ; -- Begin function _Z6kernelI20flag_heads_and_tailshLj256ELj2ELb1ELj100EEvPKT0_PS1_
	.globl	_Z6kernelI20flag_heads_and_tailshLj256ELj2ELb1ELj100EEvPKT0_PS1_
	.p2align	8
	.type	_Z6kernelI20flag_heads_and_tailshLj256ELj2ELb1ELj100EEvPKT0_PS1_,@function
_Z6kernelI20flag_heads_and_tailshLj256ELj2ELb1ELj100EEvPKT0_PS1_: ; @_Z6kernelI20flag_heads_and_tailshLj256ELj2ELb1ELj100EEvPKT0_PS1_
; %bb.0:
	s_load_dwordx4 s[0:3], s[4:5], 0x0
	s_lshl_b32 s6, s6, 9
	s_mov_b32 s4, 0xc0c0004
	v_cmp_ne_u32_e32 vcc, 0, v0
	v_add_u32_e32 v1, -1, v0
	s_waitcnt lgkmcnt(0)
	s_add_u32 s0, s0, s6
	s_addc_u32 s1, s1, 0
	global_load_ubyte v2, v0, s[0:1] offset:256
	global_load_ubyte v3, v0, s[0:1]
	s_movk_i32 s0, 0xff
	v_cmp_ne_u32_e64 s[0:1], s0, v0
	s_movk_i32 s7, 0x64
	s_waitcnt vmcnt(0)
	v_perm_b32 v2, v3, v2, s4
	s_branch .LBB106_2
.LBB106_1:                              ;   in Loop: Header=BB106_2 Depth=1
	s_or_b64 exec, exec, s[4:5]
	v_cmp_eq_u16_sdwa s[4:5], v4, v2 src0_sel:BYTE_0 src1_sel:BYTE_0
	v_cndmask_b32_e64 v4, 0, 1, s[4:5]
	v_cmp_eq_u16_sdwa s[4:5], v2, v3 src0_sel:BYTE_0 src1_sel:DWORD
	v_cndmask_b32_e64 v6, 0, 1, s[4:5]
	s_waitcnt lgkmcnt(0)
	v_cmp_eq_u16_sdwa s[4:5], v3, v5 src0_sel:DWORD src1_sel:BYTE_0
	v_add_u16_e32 v2, v2, v6
	v_cndmask_b32_e64 v5, 0, 1, s[4:5]
	v_add_u16_e32 v4, v2, v4
	v_add_u16_e32 v2, v3, v6
	v_add_u16_e32 v3, v2, v5
	v_lshlrev_b16_e32 v2, 8, v3
	v_or_b32_sdwa v2, v4, v2 dst_sel:DWORD dst_unused:UNUSED_PAD src0_sel:BYTE_0 src1_sel:DWORD
	s_add_i32 s7, s7, -1
	v_and_b32_e32 v2, 0xffff, v2
	s_cmp_lg_u32 s7, 0
	s_barrier
	s_cbranch_scc0 .LBB106_6
.LBB106_2:                              ; =>This Inner Loop Header: Depth=1
	v_lshrrev_b16_e32 v3, 8, v2
	v_mov_b32_e32 v4, 0x7b
	ds_write_b8 v0, v3
	s_waitcnt lgkmcnt(0)
	s_barrier
	s_and_saveexec_b64 s[4:5], vcc
; %bb.3:                                ;   in Loop: Header=BB106_2 Depth=1
	ds_read_u8 v4, v1
; %bb.4:                                ;   in Loop: Header=BB106_2 Depth=1
	s_or_b64 exec, exec, s[4:5]
	v_mov_b32_e32 v5, 0xea
	ds_write_b8 v0, v2 offset:256
	s_waitcnt lgkmcnt(0)
	s_barrier
	s_and_saveexec_b64 s[4:5], s[0:1]
	s_cbranch_execz .LBB106_1
; %bb.5:                                ;   in Loop: Header=BB106_2 Depth=1
	ds_read_u8 v5, v0 offset:257
	s_branch .LBB106_1
.LBB106_6:
	s_add_u32 s0, s2, s6
	s_addc_u32 s1, s3, 0
	v_mov_b32_e32 v1, s1
	v_add_co_u32_e32 v0, vcc, s0, v0
	v_addc_co_u32_e32 v1, vcc, 0, v1, vcc
	global_store_byte v[0:1], v4, off
	global_store_byte v[0:1], v3, off offset:256
	s_endpgm
	.section	.rodata,"a",@progbits
	.p2align	6, 0x0
	.amdhsa_kernel _Z6kernelI20flag_heads_and_tailshLj256ELj2ELb1ELj100EEvPKT0_PS1_
		.amdhsa_group_segment_fixed_size 512
		.amdhsa_private_segment_fixed_size 0
		.amdhsa_kernarg_size 16
		.amdhsa_user_sgpr_count 6
		.amdhsa_user_sgpr_private_segment_buffer 1
		.amdhsa_user_sgpr_dispatch_ptr 0
		.amdhsa_user_sgpr_queue_ptr 0
		.amdhsa_user_sgpr_kernarg_segment_ptr 1
		.amdhsa_user_sgpr_dispatch_id 0
		.amdhsa_user_sgpr_flat_scratch_init 0
		.amdhsa_user_sgpr_private_segment_size 0
		.amdhsa_uses_dynamic_stack 0
		.amdhsa_system_sgpr_private_segment_wavefront_offset 0
		.amdhsa_system_sgpr_workgroup_id_x 1
		.amdhsa_system_sgpr_workgroup_id_y 0
		.amdhsa_system_sgpr_workgroup_id_z 0
		.amdhsa_system_sgpr_workgroup_info 0
		.amdhsa_system_vgpr_workitem_id 0
		.amdhsa_next_free_vgpr 7
		.amdhsa_next_free_sgpr 8
		.amdhsa_reserve_vcc 1
		.amdhsa_reserve_flat_scratch 0
		.amdhsa_float_round_mode_32 0
		.amdhsa_float_round_mode_16_64 0
		.amdhsa_float_denorm_mode_32 3
		.amdhsa_float_denorm_mode_16_64 3
		.amdhsa_dx10_clamp 1
		.amdhsa_ieee_mode 1
		.amdhsa_fp16_overflow 0
		.amdhsa_exception_fp_ieee_invalid_op 0
		.amdhsa_exception_fp_denorm_src 0
		.amdhsa_exception_fp_ieee_div_zero 0
		.amdhsa_exception_fp_ieee_overflow 0
		.amdhsa_exception_fp_ieee_underflow 0
		.amdhsa_exception_fp_ieee_inexact 0
		.amdhsa_exception_int_div_zero 0
	.end_amdhsa_kernel
	.section	.text._Z6kernelI20flag_heads_and_tailshLj256ELj2ELb1ELj100EEvPKT0_PS1_,"axG",@progbits,_Z6kernelI20flag_heads_and_tailshLj256ELj2ELb1ELj100EEvPKT0_PS1_,comdat
.Lfunc_end106:
	.size	_Z6kernelI20flag_heads_and_tailshLj256ELj2ELb1ELj100EEvPKT0_PS1_, .Lfunc_end106-_Z6kernelI20flag_heads_and_tailshLj256ELj2ELb1ELj100EEvPKT0_PS1_
                                        ; -- End function
	.set _Z6kernelI20flag_heads_and_tailshLj256ELj2ELb1ELj100EEvPKT0_PS1_.num_vgpr, 7
	.set _Z6kernelI20flag_heads_and_tailshLj256ELj2ELb1ELj100EEvPKT0_PS1_.num_agpr, 0
	.set _Z6kernelI20flag_heads_and_tailshLj256ELj2ELb1ELj100EEvPKT0_PS1_.numbered_sgpr, 8
	.set _Z6kernelI20flag_heads_and_tailshLj256ELj2ELb1ELj100EEvPKT0_PS1_.num_named_barrier, 0
	.set _Z6kernelI20flag_heads_and_tailshLj256ELj2ELb1ELj100EEvPKT0_PS1_.private_seg_size, 0
	.set _Z6kernelI20flag_heads_and_tailshLj256ELj2ELb1ELj100EEvPKT0_PS1_.uses_vcc, 1
	.set _Z6kernelI20flag_heads_and_tailshLj256ELj2ELb1ELj100EEvPKT0_PS1_.uses_flat_scratch, 0
	.set _Z6kernelI20flag_heads_and_tailshLj256ELj2ELb1ELj100EEvPKT0_PS1_.has_dyn_sized_stack, 0
	.set _Z6kernelI20flag_heads_and_tailshLj256ELj2ELb1ELj100EEvPKT0_PS1_.has_recursion, 0
	.set _Z6kernelI20flag_heads_and_tailshLj256ELj2ELb1ELj100EEvPKT0_PS1_.has_indirect_call, 0
	.section	.AMDGPU.csdata,"",@progbits
; Kernel info:
; codeLenInByte = 324
; TotalNumSgprs: 12
; NumVgprs: 7
; ScratchSize: 0
; MemoryBound: 0
; FloatMode: 240
; IeeeMode: 1
; LDSByteSize: 512 bytes/workgroup (compile time only)
; SGPRBlocks: 1
; VGPRBlocks: 1
; NumSGPRsForWavesPerEU: 12
; NumVGPRsForWavesPerEU: 7
; Occupancy: 10
; WaveLimiterHint : 1
; COMPUTE_PGM_RSRC2:SCRATCH_EN: 0
; COMPUTE_PGM_RSRC2:USER_SGPR: 6
; COMPUTE_PGM_RSRC2:TRAP_HANDLER: 0
; COMPUTE_PGM_RSRC2:TGID_X_EN: 1
; COMPUTE_PGM_RSRC2:TGID_Y_EN: 0
; COMPUTE_PGM_RSRC2:TGID_Z_EN: 0
; COMPUTE_PGM_RSRC2:TIDIG_COMP_CNT: 0
	.section	.text._Z6kernelI20flag_heads_and_tailshLj256ELj3ELb1ELj100EEvPKT0_PS1_,"axG",@progbits,_Z6kernelI20flag_heads_and_tailshLj256ELj3ELb1ELj100EEvPKT0_PS1_,comdat
	.protected	_Z6kernelI20flag_heads_and_tailshLj256ELj3ELb1ELj100EEvPKT0_PS1_ ; -- Begin function _Z6kernelI20flag_heads_and_tailshLj256ELj3ELb1ELj100EEvPKT0_PS1_
	.globl	_Z6kernelI20flag_heads_and_tailshLj256ELj3ELb1ELj100EEvPKT0_PS1_
	.p2align	8
	.type	_Z6kernelI20flag_heads_and_tailshLj256ELj3ELb1ELj100EEvPKT0_PS1_,@function
_Z6kernelI20flag_heads_and_tailshLj256ELj3ELb1ELj100EEvPKT0_PS1_: ; @_Z6kernelI20flag_heads_and_tailshLj256ELj3ELb1ELj100EEvPKT0_PS1_
; %bb.0:
	s_load_dwordx4 s[0:3], s[4:5], 0x0
	s_mulk_i32 s6, 0x300
	s_mov_b32 s4, 0xc0c0004
	v_cmp_ne_u32_e32 vcc, 0, v0
	v_add_u32_e32 v1, -1, v0
	s_waitcnt lgkmcnt(0)
	s_add_u32 s0, s0, s6
	s_addc_u32 s1, s1, 0
	global_load_ubyte v2, v0, s[0:1] offset:256
	global_load_ubyte v3, v0, s[0:1] offset:512
	global_load_ubyte v4, v0, s[0:1]
	s_movk_i32 s0, 0xff
	v_cmp_ne_u32_e64 s[0:1], s0, v0
	s_movk_i32 s7, 0x64
	s_waitcnt vmcnt(0)
	v_perm_b32 v2, v4, v2, s4
	v_lshl_or_b32 v2, v3, 16, v2
	s_branch .LBB107_2
.LBB107_1:                              ;   in Loop: Header=BB107_2 Depth=1
	s_or_b64 exec, exec, s[4:5]
	v_cmp_eq_u16_sdwa s[4:5], v4, v2 src0_sel:BYTE_0 src1_sel:BYTE_0
	v_lshrrev_b32_e32 v6, 8, v2
	v_cndmask_b32_e64 v4, 0, 1, s[4:5]
	v_cmp_eq_u16_sdwa s[4:5], v6, v3 src0_sel:BYTE_0 src1_sel:BYTE_0
	v_cndmask_b32_e64 v7, 0, 1, s[4:5]
	v_cmp_eq_u16_sdwa s[4:5], v2, v6 src0_sel:BYTE_0 src1_sel:BYTE_0
	v_cndmask_b32_e64 v8, 0, 1, s[4:5]
	v_add_u16_e32 v2, v2, v8
	s_waitcnt lgkmcnt(0)
	v_cmp_eq_u16_sdwa s[4:5], v3, v5 src0_sel:BYTE_0 src1_sel:BYTE_0
	v_add_u16_e32 v4, v2, v4
	v_add_u16_e32 v2, v6, v8
	v_cndmask_b32_e64 v9, 0, 1, s[4:5]
	v_add_u16_e32 v5, v2, v7
	v_add_u16_e32 v2, v3, v7
	;; [unrolled: 1-line block ×3, first 2 shown]
	v_lshlrev_b16_e32 v2, 8, v5
	v_and_b32_e32 v6, 0xff, v3
	v_or_b32_sdwa v2, v4, v2 dst_sel:DWORD dst_unused:UNUSED_PAD src0_sel:BYTE_0 src1_sel:DWORD
	v_lshlrev_b32_e32 v6, 16, v6
	s_add_i32 s7, s7, -1
	v_or_b32_sdwa v2, v2, v6 dst_sel:DWORD dst_unused:UNUSED_PAD src0_sel:WORD_0 src1_sel:DWORD
	s_cmp_lg_u32 s7, 0
	s_barrier
	s_cbranch_scc0 .LBB107_6
.LBB107_2:                              ; =>This Inner Loop Header: Depth=1
	v_lshrrev_b32_e32 v3, 16, v2
	v_mov_b32_e32 v4, 0x7b
	ds_write_b8 v0, v3
	s_waitcnt lgkmcnt(0)
	s_barrier
	s_and_saveexec_b64 s[4:5], vcc
; %bb.3:                                ;   in Loop: Header=BB107_2 Depth=1
	ds_read_u8 v4, v1
; %bb.4:                                ;   in Loop: Header=BB107_2 Depth=1
	s_or_b64 exec, exec, s[4:5]
	v_mov_b32_e32 v5, 0xea
	ds_write_b8 v0, v2 offset:256
	s_waitcnt lgkmcnt(0)
	s_barrier
	s_and_saveexec_b64 s[4:5], s[0:1]
	s_cbranch_execz .LBB107_1
; %bb.5:                                ;   in Loop: Header=BB107_2 Depth=1
	ds_read_u8 v5, v0 offset:257
	s_branch .LBB107_1
.LBB107_6:
	s_add_u32 s0, s2, s6
	s_addc_u32 s1, s3, 0
	v_mov_b32_e32 v1, s1
	v_add_co_u32_e32 v0, vcc, s0, v0
	v_addc_co_u32_e32 v1, vcc, 0, v1, vcc
	global_store_byte v[0:1], v4, off
	global_store_byte v[0:1], v5, off offset:256
	global_store_byte v[0:1], v3, off offset:512
	s_endpgm
	.section	.rodata,"a",@progbits
	.p2align	6, 0x0
	.amdhsa_kernel _Z6kernelI20flag_heads_and_tailshLj256ELj3ELb1ELj100EEvPKT0_PS1_
		.amdhsa_group_segment_fixed_size 512
		.amdhsa_private_segment_fixed_size 0
		.amdhsa_kernarg_size 16
		.amdhsa_user_sgpr_count 6
		.amdhsa_user_sgpr_private_segment_buffer 1
		.amdhsa_user_sgpr_dispatch_ptr 0
		.amdhsa_user_sgpr_queue_ptr 0
		.amdhsa_user_sgpr_kernarg_segment_ptr 1
		.amdhsa_user_sgpr_dispatch_id 0
		.amdhsa_user_sgpr_flat_scratch_init 0
		.amdhsa_user_sgpr_private_segment_size 0
		.amdhsa_uses_dynamic_stack 0
		.amdhsa_system_sgpr_private_segment_wavefront_offset 0
		.amdhsa_system_sgpr_workgroup_id_x 1
		.amdhsa_system_sgpr_workgroup_id_y 0
		.amdhsa_system_sgpr_workgroup_id_z 0
		.amdhsa_system_sgpr_workgroup_info 0
		.amdhsa_system_vgpr_workitem_id 0
		.amdhsa_next_free_vgpr 10
		.amdhsa_next_free_sgpr 8
		.amdhsa_reserve_vcc 1
		.amdhsa_reserve_flat_scratch 0
		.amdhsa_float_round_mode_32 0
		.amdhsa_float_round_mode_16_64 0
		.amdhsa_float_denorm_mode_32 3
		.amdhsa_float_denorm_mode_16_64 3
		.amdhsa_dx10_clamp 1
		.amdhsa_ieee_mode 1
		.amdhsa_fp16_overflow 0
		.amdhsa_exception_fp_ieee_invalid_op 0
		.amdhsa_exception_fp_denorm_src 0
		.amdhsa_exception_fp_ieee_div_zero 0
		.amdhsa_exception_fp_ieee_overflow 0
		.amdhsa_exception_fp_ieee_underflow 0
		.amdhsa_exception_fp_ieee_inexact 0
		.amdhsa_exception_int_div_zero 0
	.end_amdhsa_kernel
	.section	.text._Z6kernelI20flag_heads_and_tailshLj256ELj3ELb1ELj100EEvPKT0_PS1_,"axG",@progbits,_Z6kernelI20flag_heads_and_tailshLj256ELj3ELb1ELj100EEvPKT0_PS1_,comdat
.Lfunc_end107:
	.size	_Z6kernelI20flag_heads_and_tailshLj256ELj3ELb1ELj100EEvPKT0_PS1_, .Lfunc_end107-_Z6kernelI20flag_heads_and_tailshLj256ELj3ELb1ELj100EEvPKT0_PS1_
                                        ; -- End function
	.set _Z6kernelI20flag_heads_and_tailshLj256ELj3ELb1ELj100EEvPKT0_PS1_.num_vgpr, 10
	.set _Z6kernelI20flag_heads_and_tailshLj256ELj3ELb1ELj100EEvPKT0_PS1_.num_agpr, 0
	.set _Z6kernelI20flag_heads_and_tailshLj256ELj3ELb1ELj100EEvPKT0_PS1_.numbered_sgpr, 8
	.set _Z6kernelI20flag_heads_and_tailshLj256ELj3ELb1ELj100EEvPKT0_PS1_.num_named_barrier, 0
	.set _Z6kernelI20flag_heads_and_tailshLj256ELj3ELb1ELj100EEvPKT0_PS1_.private_seg_size, 0
	.set _Z6kernelI20flag_heads_and_tailshLj256ELj3ELb1ELj100EEvPKT0_PS1_.uses_vcc, 1
	.set _Z6kernelI20flag_heads_and_tailshLj256ELj3ELb1ELj100EEvPKT0_PS1_.uses_flat_scratch, 0
	.set _Z6kernelI20flag_heads_and_tailshLj256ELj3ELb1ELj100EEvPKT0_PS1_.has_dyn_sized_stack, 0
	.set _Z6kernelI20flag_heads_and_tailshLj256ELj3ELb1ELj100EEvPKT0_PS1_.has_recursion, 0
	.set _Z6kernelI20flag_heads_and_tailshLj256ELj3ELb1ELj100EEvPKT0_PS1_.has_indirect_call, 0
	.section	.AMDGPU.csdata,"",@progbits
; Kernel info:
; codeLenInByte = 388
; TotalNumSgprs: 12
; NumVgprs: 10
; ScratchSize: 0
; MemoryBound: 0
; FloatMode: 240
; IeeeMode: 1
; LDSByteSize: 512 bytes/workgroup (compile time only)
; SGPRBlocks: 1
; VGPRBlocks: 2
; NumSGPRsForWavesPerEU: 12
; NumVGPRsForWavesPerEU: 10
; Occupancy: 10
; WaveLimiterHint : 1
; COMPUTE_PGM_RSRC2:SCRATCH_EN: 0
; COMPUTE_PGM_RSRC2:USER_SGPR: 6
; COMPUTE_PGM_RSRC2:TRAP_HANDLER: 0
; COMPUTE_PGM_RSRC2:TGID_X_EN: 1
; COMPUTE_PGM_RSRC2:TGID_Y_EN: 0
; COMPUTE_PGM_RSRC2:TGID_Z_EN: 0
; COMPUTE_PGM_RSRC2:TIDIG_COMP_CNT: 0
	.section	.text._Z6kernelI20flag_heads_and_tailshLj256ELj4ELb1ELj100EEvPKT0_PS1_,"axG",@progbits,_Z6kernelI20flag_heads_and_tailshLj256ELj4ELb1ELj100EEvPKT0_PS1_,comdat
	.protected	_Z6kernelI20flag_heads_and_tailshLj256ELj4ELb1ELj100EEvPKT0_PS1_ ; -- Begin function _Z6kernelI20flag_heads_and_tailshLj256ELj4ELb1ELj100EEvPKT0_PS1_
	.globl	_Z6kernelI20flag_heads_and_tailshLj256ELj4ELb1ELj100EEvPKT0_PS1_
	.p2align	8
	.type	_Z6kernelI20flag_heads_and_tailshLj256ELj4ELb1ELj100EEvPKT0_PS1_,@function
_Z6kernelI20flag_heads_and_tailshLj256ELj4ELb1ELj100EEvPKT0_PS1_: ; @_Z6kernelI20flag_heads_and_tailshLj256ELj4ELb1ELj100EEvPKT0_PS1_
; %bb.0:
	s_load_dwordx4 s[8:11], s[4:5], 0x0
	s_lshl_b32 s4, s6, 10
	s_mov_b32 s2, 0xc0c0004
	s_movk_i32 s5, 0xff
	v_cmp_ne_u32_e32 vcc, 0, v0
	s_waitcnt lgkmcnt(0)
	s_add_u32 s0, s8, s4
	s_addc_u32 s1, s9, 0
	global_load_ubyte v2, v0, s[0:1] offset:256
	global_load_ubyte v3, v0, s[0:1] offset:512
	global_load_ubyte v4, v0, s[0:1]
	global_load_ubyte v5, v0, s[0:1] offset:768
	v_cmp_ne_u32_e64 s[0:1], s5, v0
	v_add_u32_e32 v1, -1, v0
	s_movk_i32 s6, 0x64
	s_waitcnt vmcnt(1)
	v_perm_b32 v2, v4, v2, s2
	s_waitcnt vmcnt(0)
	v_perm_b32 v3, v3, v5, s2
	v_lshl_or_b32 v2, v3, 16, v2
	s_branch .LBB108_2
.LBB108_1:                              ;   in Loop: Header=BB108_2 Depth=1
	s_or_b64 exec, exec, s[2:3]
	v_cmp_eq_u16_sdwa s[2:3], v4, v2 src0_sel:BYTE_0 src1_sel:BYTE_0
	v_and_b32_sdwa v7, v2, s5 dst_sel:DWORD dst_unused:UNUSED_PAD src0_sel:WORD_1 src1_sel:DWORD
	v_cndmask_b32_e64 v4, 0, 1, s[2:3]
	v_lshrrev_b32_e32 v6, 8, v2
	v_cmp_eq_u16_e64 s[2:3], v7, v3
	v_cndmask_b32_e64 v8, 0, 1, s[2:3]
	v_cmp_eq_u16_sdwa s[2:3], v6, v7 src0_sel:BYTE_0 src1_sel:DWORD
	v_cndmask_b32_e64 v7, 0, 1, s[2:3]
	v_cmp_eq_u16_sdwa s[2:3], v2, v6 src0_sel:BYTE_0 src1_sel:BYTE_0
	v_cndmask_b32_e64 v9, 0, 1, s[2:3]
	s_waitcnt lgkmcnt(0)
	v_cmp_eq_u16_sdwa s[2:3], v3, v5 src0_sel:DWORD src1_sel:BYTE_0
	v_add_u16_e32 v5, v2, v9
	v_add_u16_sdwa v2, v2, v7 dst_sel:DWORD dst_unused:UNUSED_PAD src0_sel:WORD_1 src1_sel:DWORD
	v_cndmask_b32_e64 v10, 0, 1, s[2:3]
	v_add_u16_e32 v4, v5, v4
	v_add_u16_e32 v5, v6, v9
	;; [unrolled: 1-line block ×6, first 2 shown]
	v_lshlrev_b16_e32 v2, 8, v5
	v_lshlrev_b16_e32 v7, 8, v3
	v_or_b32_sdwa v2, v4, v2 dst_sel:DWORD dst_unused:UNUSED_PAD src0_sel:BYTE_0 src1_sel:DWORD
	v_or_b32_sdwa v7, v6, v7 dst_sel:WORD_1 dst_unused:UNUSED_PAD src0_sel:BYTE_0 src1_sel:DWORD
	s_add_i32 s6, s6, -1
	v_or_b32_sdwa v2, v2, v7 dst_sel:DWORD dst_unused:UNUSED_PAD src0_sel:WORD_0 src1_sel:DWORD
	s_cmp_lg_u32 s6, 0
	s_barrier
	s_cbranch_scc0 .LBB108_6
.LBB108_2:                              ; =>This Inner Loop Header: Depth=1
	v_lshrrev_b32_e32 v3, 24, v2
	v_mov_b32_e32 v4, 0x7b
	ds_write_b8 v0, v3
	s_waitcnt lgkmcnt(0)
	s_barrier
	s_and_saveexec_b64 s[2:3], vcc
; %bb.3:                                ;   in Loop: Header=BB108_2 Depth=1
	ds_read_u8 v4, v1
; %bb.4:                                ;   in Loop: Header=BB108_2 Depth=1
	s_or_b64 exec, exec, s[2:3]
	v_mov_b32_e32 v5, 0xea
	ds_write_b8 v0, v2 offset:256
	s_waitcnt lgkmcnt(0)
	s_barrier
	s_and_saveexec_b64 s[2:3], s[0:1]
	s_cbranch_execz .LBB108_1
; %bb.5:                                ;   in Loop: Header=BB108_2 Depth=1
	ds_read_u8 v5, v0 offset:257
	s_branch .LBB108_1
.LBB108_6:
	s_add_u32 s0, s10, s4
	s_addc_u32 s1, s11, 0
	v_mov_b32_e32 v1, s1
	v_add_co_u32_e32 v0, vcc, s0, v0
	v_addc_co_u32_e32 v1, vcc, 0, v1, vcc
	global_store_byte v[0:1], v4, off
	global_store_byte v[0:1], v5, off offset:256
	global_store_byte v[0:1], v6, off offset:512
	global_store_byte v[0:1], v3, off offset:768
	s_endpgm
	.section	.rodata,"a",@progbits
	.p2align	6, 0x0
	.amdhsa_kernel _Z6kernelI20flag_heads_and_tailshLj256ELj4ELb1ELj100EEvPKT0_PS1_
		.amdhsa_group_segment_fixed_size 512
		.amdhsa_private_segment_fixed_size 0
		.amdhsa_kernarg_size 16
		.amdhsa_user_sgpr_count 6
		.amdhsa_user_sgpr_private_segment_buffer 1
		.amdhsa_user_sgpr_dispatch_ptr 0
		.amdhsa_user_sgpr_queue_ptr 0
		.amdhsa_user_sgpr_kernarg_segment_ptr 1
		.amdhsa_user_sgpr_dispatch_id 0
		.amdhsa_user_sgpr_flat_scratch_init 0
		.amdhsa_user_sgpr_private_segment_size 0
		.amdhsa_uses_dynamic_stack 0
		.amdhsa_system_sgpr_private_segment_wavefront_offset 0
		.amdhsa_system_sgpr_workgroup_id_x 1
		.amdhsa_system_sgpr_workgroup_id_y 0
		.amdhsa_system_sgpr_workgroup_id_z 0
		.amdhsa_system_sgpr_workgroup_info 0
		.amdhsa_system_vgpr_workitem_id 0
		.amdhsa_next_free_vgpr 11
		.amdhsa_next_free_sgpr 12
		.amdhsa_reserve_vcc 1
		.amdhsa_reserve_flat_scratch 0
		.amdhsa_float_round_mode_32 0
		.amdhsa_float_round_mode_16_64 0
		.amdhsa_float_denorm_mode_32 3
		.amdhsa_float_denorm_mode_16_64 3
		.amdhsa_dx10_clamp 1
		.amdhsa_ieee_mode 1
		.amdhsa_fp16_overflow 0
		.amdhsa_exception_fp_ieee_invalid_op 0
		.amdhsa_exception_fp_denorm_src 0
		.amdhsa_exception_fp_ieee_div_zero 0
		.amdhsa_exception_fp_ieee_overflow 0
		.amdhsa_exception_fp_ieee_underflow 0
		.amdhsa_exception_fp_ieee_inexact 0
		.amdhsa_exception_int_div_zero 0
	.end_amdhsa_kernel
	.section	.text._Z6kernelI20flag_heads_and_tailshLj256ELj4ELb1ELj100EEvPKT0_PS1_,"axG",@progbits,_Z6kernelI20flag_heads_and_tailshLj256ELj4ELb1ELj100EEvPKT0_PS1_,comdat
.Lfunc_end108:
	.size	_Z6kernelI20flag_heads_and_tailshLj256ELj4ELb1ELj100EEvPKT0_PS1_, .Lfunc_end108-_Z6kernelI20flag_heads_and_tailshLj256ELj4ELb1ELj100EEvPKT0_PS1_
                                        ; -- End function
	.set _Z6kernelI20flag_heads_and_tailshLj256ELj4ELb1ELj100EEvPKT0_PS1_.num_vgpr, 11
	.set _Z6kernelI20flag_heads_and_tailshLj256ELj4ELb1ELj100EEvPKT0_PS1_.num_agpr, 0
	.set _Z6kernelI20flag_heads_and_tailshLj256ELj4ELb1ELj100EEvPKT0_PS1_.numbered_sgpr, 12
	.set _Z6kernelI20flag_heads_and_tailshLj256ELj4ELb1ELj100EEvPKT0_PS1_.num_named_barrier, 0
	.set _Z6kernelI20flag_heads_and_tailshLj256ELj4ELb1ELj100EEvPKT0_PS1_.private_seg_size, 0
	.set _Z6kernelI20flag_heads_and_tailshLj256ELj4ELb1ELj100EEvPKT0_PS1_.uses_vcc, 1
	.set _Z6kernelI20flag_heads_and_tailshLj256ELj4ELb1ELj100EEvPKT0_PS1_.uses_flat_scratch, 0
	.set _Z6kernelI20flag_heads_and_tailshLj256ELj4ELb1ELj100EEvPKT0_PS1_.has_dyn_sized_stack, 0
	.set _Z6kernelI20flag_heads_and_tailshLj256ELj4ELb1ELj100EEvPKT0_PS1_.has_recursion, 0
	.set _Z6kernelI20flag_heads_and_tailshLj256ELj4ELb1ELj100EEvPKT0_PS1_.has_indirect_call, 0
	.section	.AMDGPU.csdata,"",@progbits
; Kernel info:
; codeLenInByte = 452
; TotalNumSgprs: 16
; NumVgprs: 11
; ScratchSize: 0
; MemoryBound: 0
; FloatMode: 240
; IeeeMode: 1
; LDSByteSize: 512 bytes/workgroup (compile time only)
; SGPRBlocks: 1
; VGPRBlocks: 2
; NumSGPRsForWavesPerEU: 16
; NumVGPRsForWavesPerEU: 11
; Occupancy: 10
; WaveLimiterHint : 1
; COMPUTE_PGM_RSRC2:SCRATCH_EN: 0
; COMPUTE_PGM_RSRC2:USER_SGPR: 6
; COMPUTE_PGM_RSRC2:TRAP_HANDLER: 0
; COMPUTE_PGM_RSRC2:TGID_X_EN: 1
; COMPUTE_PGM_RSRC2:TGID_Y_EN: 0
; COMPUTE_PGM_RSRC2:TGID_Z_EN: 0
; COMPUTE_PGM_RSRC2:TIDIG_COMP_CNT: 0
	.section	.text._Z6kernelI20flag_heads_and_tailshLj256ELj8ELb1ELj100EEvPKT0_PS1_,"axG",@progbits,_Z6kernelI20flag_heads_and_tailshLj256ELj8ELb1ELj100EEvPKT0_PS1_,comdat
	.protected	_Z6kernelI20flag_heads_and_tailshLj256ELj8ELb1ELj100EEvPKT0_PS1_ ; -- Begin function _Z6kernelI20flag_heads_and_tailshLj256ELj8ELb1ELj100EEvPKT0_PS1_
	.globl	_Z6kernelI20flag_heads_and_tailshLj256ELj8ELb1ELj100EEvPKT0_PS1_
	.p2align	8
	.type	_Z6kernelI20flag_heads_and_tailshLj256ELj8ELb1ELj100EEvPKT0_PS1_,@function
_Z6kernelI20flag_heads_and_tailshLj256ELj8ELb1ELj100EEvPKT0_PS1_: ; @_Z6kernelI20flag_heads_and_tailshLj256ELj8ELb1ELj100EEvPKT0_PS1_
; %bb.0:
	s_load_dwordx4 s[8:11], s[4:5], 0x0
	s_lshl_b32 s4, s6, 11
	s_mov_b32 s2, 0xc0c0004
	s_movk_i32 s5, 0xff
	v_cmp_ne_u32_e32 vcc, 0, v0
	s_waitcnt lgkmcnt(0)
	s_add_u32 s0, s8, s4
	s_addc_u32 s1, s9, 0
	global_load_ubyte v1, v0, s[0:1] offset:256
	global_load_ubyte v2, v0, s[0:1] offset:1536
	;; [unrolled: 1-line block ×4, first 2 shown]
	global_load_ubyte v6, v0, s[0:1]
	global_load_ubyte v7, v0, s[0:1] offset:768
	global_load_ubyte v8, v0, s[0:1] offset:1280
	;; [unrolled: 1-line block ×3, first 2 shown]
	v_cmp_ne_u32_e64 s[0:1], s5, v0
	v_add_u32_e32 v3, -1, v0
	s_movk_i32 s6, 0x64
	s_waitcnt vmcnt(3)
	v_perm_b32 v1, v6, v1, s2
	s_waitcnt vmcnt(2)
	v_perm_b32 v5, v5, v7, s2
	;; [unrolled: 2-line block ×4, first 2 shown]
	v_lshl_or_b32 v1, v5, 16, v1
	v_lshl_or_b32 v2, v2, 16, v4
	s_branch .LBB109_2
.LBB109_1:                              ;   in Loop: Header=BB109_2 Depth=1
	s_or_b64 exec, exec, s[2:3]
	v_lshrrev_b64 v[8:9], 24, v[1:2]
	v_cmp_eq_u16_sdwa s[2:3], v6, v1 src0_sel:BYTE_0 src1_sel:BYTE_0
	v_and_b32_sdwa v9, v2, s5 dst_sel:DWORD dst_unused:UNUSED_PAD src0_sel:WORD_1 src1_sel:DWORD
	v_cndmask_b32_e64 v6, 0, 1, s[2:3]
	v_lshrrev_b32_e32 v11, 8, v2
	v_cmp_eq_u16_e64 s[2:3], v9, v4
	v_cndmask_b32_e64 v12, 0, 1, s[2:3]
	v_cmp_eq_u16_sdwa s[2:3], v11, v9 src0_sel:BYTE_0 src1_sel:DWORD
	v_cndmask_b32_e64 v13, 0, 1, s[2:3]
	v_cmp_eq_u16_sdwa s[2:3], v2, v11 src0_sel:BYTE_0 src1_sel:BYTE_0
	v_and_b32_sdwa v10, v1, s5 dst_sel:DWORD dst_unused:UNUSED_PAD src0_sel:WORD_1 src1_sel:DWORD
	v_cndmask_b32_e64 v14, 0, 1, s[2:3]
	v_cmp_eq_u16_sdwa s[2:3], v8, v2 src0_sel:BYTE_0 src1_sel:BYTE_0
	v_lshrrev_b32_e32 v7, 8, v1
	v_cndmask_b32_e64 v9, 0, 1, s[2:3]
	v_cmp_eq_u16_sdwa s[2:3], v10, v8 src0_sel:DWORD src1_sel:BYTE_0
	v_cndmask_b32_e64 v15, 0, 1, s[2:3]
	v_cmp_eq_u16_sdwa s[2:3], v7, v10 src0_sel:BYTE_0 src1_sel:DWORD
	v_cndmask_b32_e64 v10, 0, 1, s[2:3]
	v_cmp_eq_u16_sdwa s[2:3], v1, v7 src0_sel:BYTE_0 src1_sel:BYTE_0
	v_cndmask_b32_e64 v16, 0, 1, s[2:3]
	s_waitcnt lgkmcnt(0)
	v_cmp_eq_u16_sdwa s[2:3], v4, v5 src0_sel:DWORD src1_sel:BYTE_0
	v_add_u16_e32 v5, v1, v16
	v_add_u16_sdwa v1, v1, v10 dst_sel:DWORD dst_unused:UNUSED_PAD src0_sel:WORD_1 src1_sel:DWORD
	v_add_u16_e32 v5, v5, v6
	v_add_u16_e32 v6, v7, v16
	;; [unrolled: 1-line block ×10, first 2 shown]
	v_add_u16_sdwa v1, v2, v13 dst_sel:DWORD dst_unused:UNUSED_PAD src0_sel:WORD_1 src1_sel:DWORD
	v_cndmask_b32_e64 v17, 0, 1, s[2:3]
	v_add_u16_e32 v11, v1, v12
	v_add_u16_e32 v1, v4, v12
	v_add_u16_e32 v4, v1, v17
	v_lshlrev_b16_e32 v1, 8, v6
	v_lshlrev_b16_e32 v2, 8, v8
	v_or_b32_sdwa v1, v5, v1 dst_sel:DWORD dst_unused:UNUSED_PAD src0_sel:BYTE_0 src1_sel:DWORD
	v_or_b32_sdwa v2, v7, v2 dst_sel:WORD_1 dst_unused:UNUSED_PAD src0_sel:BYTE_0 src1_sel:DWORD
	v_or_b32_sdwa v1, v1, v2 dst_sel:DWORD dst_unused:UNUSED_PAD src0_sel:WORD_0 src1_sel:DWORD
	v_lshlrev_b16_e32 v2, 8, v10
	v_lshlrev_b16_e32 v12, 8, v4
	v_or_b32_sdwa v2, v9, v2 dst_sel:DWORD dst_unused:UNUSED_PAD src0_sel:BYTE_0 src1_sel:DWORD
	v_or_b32_sdwa v12, v11, v12 dst_sel:WORD_1 dst_unused:UNUSED_PAD src0_sel:BYTE_0 src1_sel:DWORD
	s_add_i32 s6, s6, -1
	s_cmp_lg_u32 s6, 0
	v_or_b32_sdwa v2, v2, v12 dst_sel:DWORD dst_unused:UNUSED_PAD src0_sel:WORD_0 src1_sel:DWORD
	s_barrier
	s_cbranch_scc0 .LBB109_6
.LBB109_2:                              ; =>This Inner Loop Header: Depth=1
	v_lshrrev_b32_e32 v4, 24, v2
	v_mov_b32_e32 v6, 0x7b
	ds_write_b8 v0, v4
	s_waitcnt lgkmcnt(0)
	s_barrier
	s_and_saveexec_b64 s[2:3], vcc
; %bb.3:                                ;   in Loop: Header=BB109_2 Depth=1
	ds_read_u8 v6, v3
; %bb.4:                                ;   in Loop: Header=BB109_2 Depth=1
	s_or_b64 exec, exec, s[2:3]
	v_mov_b32_e32 v5, 0xea
	ds_write_b8 v0, v1 offset:256
	s_waitcnt lgkmcnt(0)
	s_barrier
	s_and_saveexec_b64 s[2:3], s[0:1]
	s_cbranch_execz .LBB109_1
; %bb.5:                                ;   in Loop: Header=BB109_2 Depth=1
	ds_read_u8 v5, v0 offset:257
	s_branch .LBB109_1
.LBB109_6:
	s_add_u32 s0, s10, s4
	s_addc_u32 s1, s11, 0
	v_mov_b32_e32 v1, s1
	v_add_co_u32_e32 v0, vcc, s0, v0
	v_addc_co_u32_e32 v1, vcc, 0, v1, vcc
	global_store_byte v[0:1], v5, off
	global_store_byte v[0:1], v6, off offset:256
	global_store_byte v[0:1], v7, off offset:512
	;; [unrolled: 1-line block ×7, first 2 shown]
	s_endpgm
	.section	.rodata,"a",@progbits
	.p2align	6, 0x0
	.amdhsa_kernel _Z6kernelI20flag_heads_and_tailshLj256ELj8ELb1ELj100EEvPKT0_PS1_
		.amdhsa_group_segment_fixed_size 512
		.amdhsa_private_segment_fixed_size 0
		.amdhsa_kernarg_size 16
		.amdhsa_user_sgpr_count 6
		.amdhsa_user_sgpr_private_segment_buffer 1
		.amdhsa_user_sgpr_dispatch_ptr 0
		.amdhsa_user_sgpr_queue_ptr 0
		.amdhsa_user_sgpr_kernarg_segment_ptr 1
		.amdhsa_user_sgpr_dispatch_id 0
		.amdhsa_user_sgpr_flat_scratch_init 0
		.amdhsa_user_sgpr_private_segment_size 0
		.amdhsa_uses_dynamic_stack 0
		.amdhsa_system_sgpr_private_segment_wavefront_offset 0
		.amdhsa_system_sgpr_workgroup_id_x 1
		.amdhsa_system_sgpr_workgroup_id_y 0
		.amdhsa_system_sgpr_workgroup_id_z 0
		.amdhsa_system_sgpr_workgroup_info 0
		.amdhsa_system_vgpr_workitem_id 0
		.amdhsa_next_free_vgpr 18
		.amdhsa_next_free_sgpr 12
		.amdhsa_reserve_vcc 1
		.amdhsa_reserve_flat_scratch 0
		.amdhsa_float_round_mode_32 0
		.amdhsa_float_round_mode_16_64 0
		.amdhsa_float_denorm_mode_32 3
		.amdhsa_float_denorm_mode_16_64 3
		.amdhsa_dx10_clamp 1
		.amdhsa_ieee_mode 1
		.amdhsa_fp16_overflow 0
		.amdhsa_exception_fp_ieee_invalid_op 0
		.amdhsa_exception_fp_denorm_src 0
		.amdhsa_exception_fp_ieee_div_zero 0
		.amdhsa_exception_fp_ieee_overflow 0
		.amdhsa_exception_fp_ieee_underflow 0
		.amdhsa_exception_fp_ieee_inexact 0
		.amdhsa_exception_int_div_zero 0
	.end_amdhsa_kernel
	.section	.text._Z6kernelI20flag_heads_and_tailshLj256ELj8ELb1ELj100EEvPKT0_PS1_,"axG",@progbits,_Z6kernelI20flag_heads_and_tailshLj256ELj8ELb1ELj100EEvPKT0_PS1_,comdat
.Lfunc_end109:
	.size	_Z6kernelI20flag_heads_and_tailshLj256ELj8ELb1ELj100EEvPKT0_PS1_, .Lfunc_end109-_Z6kernelI20flag_heads_and_tailshLj256ELj8ELb1ELj100EEvPKT0_PS1_
                                        ; -- End function
	.set _Z6kernelI20flag_heads_and_tailshLj256ELj8ELb1ELj100EEvPKT0_PS1_.num_vgpr, 18
	.set _Z6kernelI20flag_heads_and_tailshLj256ELj8ELb1ELj100EEvPKT0_PS1_.num_agpr, 0
	.set _Z6kernelI20flag_heads_and_tailshLj256ELj8ELb1ELj100EEvPKT0_PS1_.numbered_sgpr, 12
	.set _Z6kernelI20flag_heads_and_tailshLj256ELj8ELb1ELj100EEvPKT0_PS1_.num_named_barrier, 0
	.set _Z6kernelI20flag_heads_and_tailshLj256ELj8ELb1ELj100EEvPKT0_PS1_.private_seg_size, 0
	.set _Z6kernelI20flag_heads_and_tailshLj256ELj8ELb1ELj100EEvPKT0_PS1_.uses_vcc, 1
	.set _Z6kernelI20flag_heads_and_tailshLj256ELj8ELb1ELj100EEvPKT0_PS1_.uses_flat_scratch, 0
	.set _Z6kernelI20flag_heads_and_tailshLj256ELj8ELb1ELj100EEvPKT0_PS1_.has_dyn_sized_stack, 0
	.set _Z6kernelI20flag_heads_and_tailshLj256ELj8ELb1ELj100EEvPKT0_PS1_.has_recursion, 0
	.set _Z6kernelI20flag_heads_and_tailshLj256ELj8ELb1ELj100EEvPKT0_PS1_.has_indirect_call, 0
	.section	.AMDGPU.csdata,"",@progbits
; Kernel info:
; codeLenInByte = 700
; TotalNumSgprs: 16
; NumVgprs: 18
; ScratchSize: 0
; MemoryBound: 0
; FloatMode: 240
; IeeeMode: 1
; LDSByteSize: 512 bytes/workgroup (compile time only)
; SGPRBlocks: 1
; VGPRBlocks: 4
; NumSGPRsForWavesPerEU: 16
; NumVGPRsForWavesPerEU: 18
; Occupancy: 10
; WaveLimiterHint : 1
; COMPUTE_PGM_RSRC2:SCRATCH_EN: 0
; COMPUTE_PGM_RSRC2:USER_SGPR: 6
; COMPUTE_PGM_RSRC2:TRAP_HANDLER: 0
; COMPUTE_PGM_RSRC2:TGID_X_EN: 1
; COMPUTE_PGM_RSRC2:TGID_Y_EN: 0
; COMPUTE_PGM_RSRC2:TGID_Z_EN: 0
; COMPUTE_PGM_RSRC2:TIDIG_COMP_CNT: 0
	.section	.text._Z6kernelI20flag_heads_and_tailsxLj256ELj1ELb0ELj100EEvPKT0_PS1_,"axG",@progbits,_Z6kernelI20flag_heads_and_tailsxLj256ELj1ELb0ELj100EEvPKT0_PS1_,comdat
	.protected	_Z6kernelI20flag_heads_and_tailsxLj256ELj1ELb0ELj100EEvPKT0_PS1_ ; -- Begin function _Z6kernelI20flag_heads_and_tailsxLj256ELj1ELb0ELj100EEvPKT0_PS1_
	.globl	_Z6kernelI20flag_heads_and_tailsxLj256ELj1ELb0ELj100EEvPKT0_PS1_
	.p2align	8
	.type	_Z6kernelI20flag_heads_and_tailsxLj256ELj1ELb0ELj100EEvPKT0_PS1_,@function
_Z6kernelI20flag_heads_and_tailsxLj256ELj1ELb0ELj100EEvPKT0_PS1_: ; @_Z6kernelI20flag_heads_and_tailsxLj256ELj1ELb0ELj100EEvPKT0_PS1_
; %bb.0:
	s_load_dwordx4 s[8:11], s[4:5], 0x0
	s_lshl_b32 s4, s6, 8
	s_mov_b32 s5, 0
	s_lshl_b64 s[6:7], s[4:5], 3
	v_lshlrev_b32_e32 v7, 3, v0
	s_waitcnt lgkmcnt(0)
	s_add_u32 s0, s8, s6
	s_addc_u32 s1, s9, s7
	global_load_dwordx2 v[1:2], v7, s[0:1]
	s_movk_i32 s0, 0xff
	v_cmp_ne_u32_e32 vcc, 0, v0
	v_cmp_ne_u32_e64 s[0:1], s0, v0
	v_add_u32_e32 v8, -8, v7
	s_movk_i32 s4, 0x64
	s_branch .LBB110_2
.LBB110_1:                              ;   in Loop: Header=BB110_2 Depth=1
	s_or_b64 exec, exec, s[8:9]
	v_add_co_u32_e64 v1, s[2:3], v5, v1
	v_addc_co_u32_e64 v2, s[2:3], v6, v2, s[2:3]
	v_add_co_u32_e64 v1, s[2:3], v1, v3
	s_add_i32 s4, s4, -1
	v_addc_co_u32_e64 v2, s[2:3], v2, v4, s[2:3]
	s_cmp_lg_u32 s4, 0
	s_barrier
	s_cbranch_scc0 .LBB110_6
.LBB110_2:                              ; =>This Inner Loop Header: Depth=1
	v_mov_b32_e32 v3, 1
	v_mov_b32_e32 v5, 1
	;; [unrolled: 1-line block ×4, first 2 shown]
	s_waitcnt vmcnt(0)
	ds_write_b64 v7, v[1:2]
	s_waitcnt lgkmcnt(0)
	s_barrier
	s_and_saveexec_b64 s[8:9], vcc
	s_cbranch_execz .LBB110_4
; %bb.3:                                ;   in Loop: Header=BB110_2 Depth=1
	ds_read_b64 v[5:6], v8
	s_waitcnt lgkmcnt(0)
	v_cmp_eq_u64_e64 s[2:3], v[5:6], v[1:2]
	v_mov_b32_e32 v6, s5
	v_cndmask_b32_e64 v5, 0, 1, s[2:3]
.LBB110_4:                              ;   in Loop: Header=BB110_2 Depth=1
	s_or_b64 exec, exec, s[8:9]
	ds_write_b64 v7, v[1:2] offset:2048
	s_waitcnt lgkmcnt(0)
	s_barrier
	s_and_saveexec_b64 s[8:9], s[0:1]
	s_cbranch_execz .LBB110_1
; %bb.5:                                ;   in Loop: Header=BB110_2 Depth=1
	ds_read_b64 v[3:4], v7 offset:2056
	s_waitcnt lgkmcnt(0)
	v_cmp_eq_u64_e64 s[2:3], v[1:2], v[3:4]
	v_mov_b32_e32 v4, s5
	v_cndmask_b32_e64 v3, 0, 1, s[2:3]
	s_branch .LBB110_1
.LBB110_6:
	s_add_u32 s0, s10, s6
	s_addc_u32 s1, s11, s7
	v_lshlrev_b32_e32 v0, 3, v0
	global_store_dwordx2 v0, v[1:2], s[0:1]
	s_endpgm
	.section	.rodata,"a",@progbits
	.p2align	6, 0x0
	.amdhsa_kernel _Z6kernelI20flag_heads_and_tailsxLj256ELj1ELb0ELj100EEvPKT0_PS1_
		.amdhsa_group_segment_fixed_size 4096
		.amdhsa_private_segment_fixed_size 0
		.amdhsa_kernarg_size 16
		.amdhsa_user_sgpr_count 6
		.amdhsa_user_sgpr_private_segment_buffer 1
		.amdhsa_user_sgpr_dispatch_ptr 0
		.amdhsa_user_sgpr_queue_ptr 0
		.amdhsa_user_sgpr_kernarg_segment_ptr 1
		.amdhsa_user_sgpr_dispatch_id 0
		.amdhsa_user_sgpr_flat_scratch_init 0
		.amdhsa_user_sgpr_private_segment_size 0
		.amdhsa_uses_dynamic_stack 0
		.amdhsa_system_sgpr_private_segment_wavefront_offset 0
		.amdhsa_system_sgpr_workgroup_id_x 1
		.amdhsa_system_sgpr_workgroup_id_y 0
		.amdhsa_system_sgpr_workgroup_id_z 0
		.amdhsa_system_sgpr_workgroup_info 0
		.amdhsa_system_vgpr_workitem_id 0
		.amdhsa_next_free_vgpr 9
		.amdhsa_next_free_sgpr 12
		.amdhsa_reserve_vcc 1
		.amdhsa_reserve_flat_scratch 0
		.amdhsa_float_round_mode_32 0
		.amdhsa_float_round_mode_16_64 0
		.amdhsa_float_denorm_mode_32 3
		.amdhsa_float_denorm_mode_16_64 3
		.amdhsa_dx10_clamp 1
		.amdhsa_ieee_mode 1
		.amdhsa_fp16_overflow 0
		.amdhsa_exception_fp_ieee_invalid_op 0
		.amdhsa_exception_fp_denorm_src 0
		.amdhsa_exception_fp_ieee_div_zero 0
		.amdhsa_exception_fp_ieee_overflow 0
		.amdhsa_exception_fp_ieee_underflow 0
		.amdhsa_exception_fp_ieee_inexact 0
		.amdhsa_exception_int_div_zero 0
	.end_amdhsa_kernel
	.section	.text._Z6kernelI20flag_heads_and_tailsxLj256ELj1ELb0ELj100EEvPKT0_PS1_,"axG",@progbits,_Z6kernelI20flag_heads_and_tailsxLj256ELj1ELb0ELj100EEvPKT0_PS1_,comdat
.Lfunc_end110:
	.size	_Z6kernelI20flag_heads_and_tailsxLj256ELj1ELb0ELj100EEvPKT0_PS1_, .Lfunc_end110-_Z6kernelI20flag_heads_and_tailsxLj256ELj1ELb0ELj100EEvPKT0_PS1_
                                        ; -- End function
	.set _Z6kernelI20flag_heads_and_tailsxLj256ELj1ELb0ELj100EEvPKT0_PS1_.num_vgpr, 9
	.set _Z6kernelI20flag_heads_and_tailsxLj256ELj1ELb0ELj100EEvPKT0_PS1_.num_agpr, 0
	.set _Z6kernelI20flag_heads_and_tailsxLj256ELj1ELb0ELj100EEvPKT0_PS1_.numbered_sgpr, 12
	.set _Z6kernelI20flag_heads_and_tailsxLj256ELj1ELb0ELj100EEvPKT0_PS1_.num_named_barrier, 0
	.set _Z6kernelI20flag_heads_and_tailsxLj256ELj1ELb0ELj100EEvPKT0_PS1_.private_seg_size, 0
	.set _Z6kernelI20flag_heads_and_tailsxLj256ELj1ELb0ELj100EEvPKT0_PS1_.uses_vcc, 1
	.set _Z6kernelI20flag_heads_and_tailsxLj256ELj1ELb0ELj100EEvPKT0_PS1_.uses_flat_scratch, 0
	.set _Z6kernelI20flag_heads_and_tailsxLj256ELj1ELb0ELj100EEvPKT0_PS1_.has_dyn_sized_stack, 0
	.set _Z6kernelI20flag_heads_and_tailsxLj256ELj1ELb0ELj100EEvPKT0_PS1_.has_recursion, 0
	.set _Z6kernelI20flag_heads_and_tailsxLj256ELj1ELb0ELj100EEvPKT0_PS1_.has_indirect_call, 0
	.section	.AMDGPU.csdata,"",@progbits
; Kernel info:
; codeLenInByte = 288
; TotalNumSgprs: 16
; NumVgprs: 9
; ScratchSize: 0
; MemoryBound: 0
; FloatMode: 240
; IeeeMode: 1
; LDSByteSize: 4096 bytes/workgroup (compile time only)
; SGPRBlocks: 1
; VGPRBlocks: 2
; NumSGPRsForWavesPerEU: 16
; NumVGPRsForWavesPerEU: 9
; Occupancy: 10
; WaveLimiterHint : 0
; COMPUTE_PGM_RSRC2:SCRATCH_EN: 0
; COMPUTE_PGM_RSRC2:USER_SGPR: 6
; COMPUTE_PGM_RSRC2:TRAP_HANDLER: 0
; COMPUTE_PGM_RSRC2:TGID_X_EN: 1
; COMPUTE_PGM_RSRC2:TGID_Y_EN: 0
; COMPUTE_PGM_RSRC2:TGID_Z_EN: 0
; COMPUTE_PGM_RSRC2:TIDIG_COMP_CNT: 0
	.section	.text._Z6kernelI20flag_heads_and_tailsxLj256ELj2ELb0ELj100EEvPKT0_PS1_,"axG",@progbits,_Z6kernelI20flag_heads_and_tailsxLj256ELj2ELb0ELj100EEvPKT0_PS1_,comdat
	.protected	_Z6kernelI20flag_heads_and_tailsxLj256ELj2ELb0ELj100EEvPKT0_PS1_ ; -- Begin function _Z6kernelI20flag_heads_and_tailsxLj256ELj2ELb0ELj100EEvPKT0_PS1_
	.globl	_Z6kernelI20flag_heads_and_tailsxLj256ELj2ELb0ELj100EEvPKT0_PS1_
	.p2align	8
	.type	_Z6kernelI20flag_heads_and_tailsxLj256ELj2ELb0ELj100EEvPKT0_PS1_,@function
_Z6kernelI20flag_heads_and_tailsxLj256ELj2ELb0ELj100EEvPKT0_PS1_: ; @_Z6kernelI20flag_heads_and_tailsxLj256ELj2ELb0ELj100EEvPKT0_PS1_
; %bb.0:
	s_load_dwordx4 s[8:11], s[4:5], 0x0
	s_lshl_b32 s0, s6, 9
	s_mov_b32 s1, 0
	s_lshl_b64 s[6:7], s[0:1], 3
	v_lshlrev_b32_e32 v5, 3, v0
	s_waitcnt lgkmcnt(0)
	s_add_u32 s0, s8, s6
	s_addc_u32 s1, s9, s7
	global_load_dwordx2 v[1:2], v5, s[0:1]
	global_load_dwordx2 v[3:4], v5, s[0:1] offset:2048
	s_movk_i32 s2, 0xff
	v_cmp_ne_u32_e64 s[0:1], 0, v0
	v_cmp_ne_u32_e64 s[2:3], s2, v0
	v_add_u32_e32 v6, -8, v5
	s_movk_i32 s12, 0x64
	s_branch .LBB111_2
.LBB111_1:                              ;   in Loop: Header=BB111_2 Depth=1
	s_or_b64 exec, exec, s[4:5]
	v_add_co_u32_sdwa v3, vcc, v3, v9 dst_sel:DWORD dst_unused:UNUSED_PAD src0_sel:DWORD src1_sel:BYTE_0
	v_addc_co_u32_e32 v4, vcc, 0, v4, vcc
	v_add_co_u32_sdwa v1, vcc, v1, v8 dst_sel:DWORD dst_unused:UNUSED_PAD src0_sel:DWORD src1_sel:BYTE_0
	v_addc_co_u32_e32 v2, vcc, 0, v2, vcc
	;; [unrolled: 2-line block ×3, first 2 shown]
	v_add_co_u32_sdwa v3, vcc, v3, v7 dst_sel:DWORD dst_unused:UNUSED_PAD src0_sel:DWORD src1_sel:BYTE_0
	s_add_i32 s12, s12, -1
	v_addc_co_u32_e32 v4, vcc, 0, v4, vcc
	s_cmp_lg_u32 s12, 0
	s_barrier
	s_cbranch_scc0 .LBB111_6
.LBB111_2:                              ; =>This Inner Loop Header: Depth=1
	s_waitcnt vmcnt(0)
	v_cmp_eq_u64_e32 vcc, v[1:2], v[3:4]
	v_mov_b32_e32 v7, 1
	v_mov_b32_e32 v8, 1
	ds_write_b64 v5, v[3:4]
	s_waitcnt lgkmcnt(0)
	s_barrier
	s_and_saveexec_b64 s[8:9], s[0:1]
	s_cbranch_execz .LBB111_4
; %bb.3:                                ;   in Loop: Header=BB111_2 Depth=1
	ds_read_b64 v[8:9], v6
	s_waitcnt lgkmcnt(0)
	v_cmp_eq_u64_e64 s[4:5], v[8:9], v[1:2]
	v_cndmask_b32_e64 v8, 0, 1, s[4:5]
.LBB111_4:                              ;   in Loop: Header=BB111_2 Depth=1
	s_or_b64 exec, exec, s[8:9]
	v_cndmask_b32_e64 v9, 0, 1, vcc
	ds_write_b64 v5, v[1:2] offset:2048
	s_waitcnt lgkmcnt(0)
	s_barrier
	s_and_saveexec_b64 s[4:5], s[2:3]
	s_cbranch_execz .LBB111_1
; %bb.5:                                ;   in Loop: Header=BB111_2 Depth=1
	ds_read_b64 v[10:11], v5 offset:2056
	s_waitcnt lgkmcnt(0)
	v_cmp_eq_u64_e32 vcc, v[3:4], v[10:11]
	v_cndmask_b32_e64 v7, 0, 1, vcc
	s_branch .LBB111_1
.LBB111_6:
	s_add_u32 s0, s10, s6
	s_addc_u32 s1, s11, s7
	v_lshlrev_b32_e32 v0, 3, v0
	global_store_dwordx2 v0, v[1:2], s[0:1]
	global_store_dwordx2 v0, v[3:4], s[0:1] offset:2048
	s_endpgm
	.section	.rodata,"a",@progbits
	.p2align	6, 0x0
	.amdhsa_kernel _Z6kernelI20flag_heads_and_tailsxLj256ELj2ELb0ELj100EEvPKT0_PS1_
		.amdhsa_group_segment_fixed_size 4096
		.amdhsa_private_segment_fixed_size 0
		.amdhsa_kernarg_size 16
		.amdhsa_user_sgpr_count 6
		.amdhsa_user_sgpr_private_segment_buffer 1
		.amdhsa_user_sgpr_dispatch_ptr 0
		.amdhsa_user_sgpr_queue_ptr 0
		.amdhsa_user_sgpr_kernarg_segment_ptr 1
		.amdhsa_user_sgpr_dispatch_id 0
		.amdhsa_user_sgpr_flat_scratch_init 0
		.amdhsa_user_sgpr_private_segment_size 0
		.amdhsa_uses_dynamic_stack 0
		.amdhsa_system_sgpr_private_segment_wavefront_offset 0
		.amdhsa_system_sgpr_workgroup_id_x 1
		.amdhsa_system_sgpr_workgroup_id_y 0
		.amdhsa_system_sgpr_workgroup_id_z 0
		.amdhsa_system_sgpr_workgroup_info 0
		.amdhsa_system_vgpr_workitem_id 0
		.amdhsa_next_free_vgpr 12
		.amdhsa_next_free_sgpr 13
		.amdhsa_reserve_vcc 1
		.amdhsa_reserve_flat_scratch 0
		.amdhsa_float_round_mode_32 0
		.amdhsa_float_round_mode_16_64 0
		.amdhsa_float_denorm_mode_32 3
		.amdhsa_float_denorm_mode_16_64 3
		.amdhsa_dx10_clamp 1
		.amdhsa_ieee_mode 1
		.amdhsa_fp16_overflow 0
		.amdhsa_exception_fp_ieee_invalid_op 0
		.amdhsa_exception_fp_denorm_src 0
		.amdhsa_exception_fp_ieee_div_zero 0
		.amdhsa_exception_fp_ieee_overflow 0
		.amdhsa_exception_fp_ieee_underflow 0
		.amdhsa_exception_fp_ieee_inexact 0
		.amdhsa_exception_int_div_zero 0
	.end_amdhsa_kernel
	.section	.text._Z6kernelI20flag_heads_and_tailsxLj256ELj2ELb0ELj100EEvPKT0_PS1_,"axG",@progbits,_Z6kernelI20flag_heads_and_tailsxLj256ELj2ELb0ELj100EEvPKT0_PS1_,comdat
.Lfunc_end111:
	.size	_Z6kernelI20flag_heads_and_tailsxLj256ELj2ELb0ELj100EEvPKT0_PS1_, .Lfunc_end111-_Z6kernelI20flag_heads_and_tailsxLj256ELj2ELb0ELj100EEvPKT0_PS1_
                                        ; -- End function
	.set _Z6kernelI20flag_heads_and_tailsxLj256ELj2ELb0ELj100EEvPKT0_PS1_.num_vgpr, 12
	.set _Z6kernelI20flag_heads_and_tailsxLj256ELj2ELb0ELj100EEvPKT0_PS1_.num_agpr, 0
	.set _Z6kernelI20flag_heads_and_tailsxLj256ELj2ELb0ELj100EEvPKT0_PS1_.numbered_sgpr, 13
	.set _Z6kernelI20flag_heads_and_tailsxLj256ELj2ELb0ELj100EEvPKT0_PS1_.num_named_barrier, 0
	.set _Z6kernelI20flag_heads_and_tailsxLj256ELj2ELb0ELj100EEvPKT0_PS1_.private_seg_size, 0
	.set _Z6kernelI20flag_heads_and_tailsxLj256ELj2ELb0ELj100EEvPKT0_PS1_.uses_vcc, 1
	.set _Z6kernelI20flag_heads_and_tailsxLj256ELj2ELb0ELj100EEvPKT0_PS1_.uses_flat_scratch, 0
	.set _Z6kernelI20flag_heads_and_tailsxLj256ELj2ELb0ELj100EEvPKT0_PS1_.has_dyn_sized_stack, 0
	.set _Z6kernelI20flag_heads_and_tailsxLj256ELj2ELb0ELj100EEvPKT0_PS1_.has_recursion, 0
	.set _Z6kernelI20flag_heads_and_tailsxLj256ELj2ELb0ELj100EEvPKT0_PS1_.has_indirect_call, 0
	.section	.AMDGPU.csdata,"",@progbits
; Kernel info:
; codeLenInByte = 316
; TotalNumSgprs: 17
; NumVgprs: 12
; ScratchSize: 0
; MemoryBound: 0
; FloatMode: 240
; IeeeMode: 1
; LDSByteSize: 4096 bytes/workgroup (compile time only)
; SGPRBlocks: 2
; VGPRBlocks: 2
; NumSGPRsForWavesPerEU: 17
; NumVGPRsForWavesPerEU: 12
; Occupancy: 10
; WaveLimiterHint : 1
; COMPUTE_PGM_RSRC2:SCRATCH_EN: 0
; COMPUTE_PGM_RSRC2:USER_SGPR: 6
; COMPUTE_PGM_RSRC2:TRAP_HANDLER: 0
; COMPUTE_PGM_RSRC2:TGID_X_EN: 1
; COMPUTE_PGM_RSRC2:TGID_Y_EN: 0
; COMPUTE_PGM_RSRC2:TGID_Z_EN: 0
; COMPUTE_PGM_RSRC2:TIDIG_COMP_CNT: 0
	.section	.text._Z6kernelI20flag_heads_and_tailsxLj256ELj3ELb0ELj100EEvPKT0_PS1_,"axG",@progbits,_Z6kernelI20flag_heads_and_tailsxLj256ELj3ELb0ELj100EEvPKT0_PS1_,comdat
	.protected	_Z6kernelI20flag_heads_and_tailsxLj256ELj3ELb0ELj100EEvPKT0_PS1_ ; -- Begin function _Z6kernelI20flag_heads_and_tailsxLj256ELj3ELb0ELj100EEvPKT0_PS1_
	.globl	_Z6kernelI20flag_heads_and_tailsxLj256ELj3ELb0ELj100EEvPKT0_PS1_
	.p2align	8
	.type	_Z6kernelI20flag_heads_and_tailsxLj256ELj3ELb0ELj100EEvPKT0_PS1_,@function
_Z6kernelI20flag_heads_and_tailsxLj256ELj3ELb0ELj100EEvPKT0_PS1_: ; @_Z6kernelI20flag_heads_and_tailsxLj256ELj3ELb0ELj100EEvPKT0_PS1_
; %bb.0:
	s_load_dwordx4 s[8:11], s[4:5], 0x0
	s_mul_i32 s0, s6, 0x300
	s_mov_b32 s1, 0
	s_lshl_b64 s[12:13], s[0:1], 3
	v_lshlrev_b32_e32 v7, 3, v0
	s_waitcnt lgkmcnt(0)
	s_add_u32 s0, s8, s12
	s_addc_u32 s1, s9, s13
	v_mov_b32_e32 v1, s1
	v_add_co_u32_e32 v2, vcc, s0, v7
	v_addc_co_u32_e32 v1, vcc, 0, v1, vcc
	v_add_co_u32_e32 v8, vcc, 0x1000, v2
	v_addc_co_u32_e32 v9, vcc, 0, v1, vcc
	global_load_dwordx2 v[3:4], v7, s[0:1]
	global_load_dwordx2 v[5:6], v7, s[0:1] offset:2048
	global_load_dwordx2 v[1:2], v[8:9], off
	s_movk_i32 s2, 0xff
	v_cmp_ne_u32_e64 s[0:1], 0, v0
	v_cmp_ne_u32_e64 s[2:3], s2, v0
	v_add_u32_e32 v8, -8, v7
	s_movk_i32 s14, 0x64
	s_branch .LBB112_2
.LBB112_1:                              ;   in Loop: Header=BB112_2 Depth=1
	s_or_b64 exec, exec, s[4:5]
	v_add_co_u32_sdwa v5, vcc, v5, v12 dst_sel:DWORD dst_unused:UNUSED_PAD src0_sel:DWORD src1_sel:BYTE_0
	v_addc_co_u32_e32 v6, vcc, 0, v6, vcc
	v_add_co_u32_sdwa v3, vcc, v3, v10 dst_sel:DWORD dst_unused:UNUSED_PAD src0_sel:DWORD src1_sel:BYTE_0
	v_addc_co_u32_e32 v4, vcc, 0, v4, vcc
	;; [unrolled: 2-line block ×5, first 2 shown]
	v_add_co_u32_sdwa v1, vcc, v1, v9 dst_sel:DWORD dst_unused:UNUSED_PAD src0_sel:DWORD src1_sel:BYTE_0
	s_add_i32 s14, s14, -1
	v_addc_co_u32_e32 v2, vcc, 0, v2, vcc
	s_cmp_lg_u32 s14, 0
	s_barrier
	s_cbranch_scc0 .LBB112_6
.LBB112_2:                              ; =>This Inner Loop Header: Depth=1
	s_waitcnt vmcnt(0)
	v_cmp_eq_u64_e32 vcc, v[5:6], v[1:2]
	v_cmp_eq_u64_e64 s[4:5], v[3:4], v[5:6]
	v_mov_b32_e32 v9, 1
	v_mov_b32_e32 v10, 1
	ds_write_b64 v7, v[1:2]
	s_waitcnt lgkmcnt(0)
	s_barrier
	s_and_saveexec_b64 s[8:9], s[0:1]
	s_cbranch_execz .LBB112_4
; %bb.3:                                ;   in Loop: Header=BB112_2 Depth=1
	ds_read_b64 v[10:11], v8
	s_waitcnt lgkmcnt(0)
	v_cmp_eq_u64_e64 s[6:7], v[10:11], v[3:4]
	v_cndmask_b32_e64 v10, 0, 1, s[6:7]
.LBB112_4:                              ;   in Loop: Header=BB112_2 Depth=1
	s_or_b64 exec, exec, s[8:9]
	v_cndmask_b32_e64 v11, 0, 1, vcc
	v_cndmask_b32_e64 v12, 0, 1, s[4:5]
	ds_write_b64 v7, v[3:4] offset:2048
	s_waitcnt lgkmcnt(0)
	s_barrier
	s_and_saveexec_b64 s[4:5], s[2:3]
	s_cbranch_execz .LBB112_1
; %bb.5:                                ;   in Loop: Header=BB112_2 Depth=1
	ds_read_b64 v[13:14], v7 offset:2056
	s_waitcnt lgkmcnt(0)
	v_cmp_eq_u64_e32 vcc, v[1:2], v[13:14]
	v_cndmask_b32_e64 v9, 0, 1, vcc
	s_branch .LBB112_1
.LBB112_6:
	s_add_u32 s0, s10, s12
	s_addc_u32 s1, s11, s13
	v_lshlrev_b32_e32 v0, 3, v0
	v_mov_b32_e32 v7, s1
	v_add_co_u32_e32 v8, vcc, s0, v0
	v_addc_co_u32_e32 v7, vcc, 0, v7, vcc
	global_store_dwordx2 v0, v[3:4], s[0:1]
	global_store_dwordx2 v0, v[5:6], s[0:1] offset:2048
	v_add_co_u32_e32 v3, vcc, 0x1000, v8
	v_addc_co_u32_e32 v4, vcc, 0, v7, vcc
	global_store_dwordx2 v[3:4], v[1:2], off
	s_endpgm
	.section	.rodata,"a",@progbits
	.p2align	6, 0x0
	.amdhsa_kernel _Z6kernelI20flag_heads_and_tailsxLj256ELj3ELb0ELj100EEvPKT0_PS1_
		.amdhsa_group_segment_fixed_size 4096
		.amdhsa_private_segment_fixed_size 0
		.amdhsa_kernarg_size 16
		.amdhsa_user_sgpr_count 6
		.amdhsa_user_sgpr_private_segment_buffer 1
		.amdhsa_user_sgpr_dispatch_ptr 0
		.amdhsa_user_sgpr_queue_ptr 0
		.amdhsa_user_sgpr_kernarg_segment_ptr 1
		.amdhsa_user_sgpr_dispatch_id 0
		.amdhsa_user_sgpr_flat_scratch_init 0
		.amdhsa_user_sgpr_private_segment_size 0
		.amdhsa_uses_dynamic_stack 0
		.amdhsa_system_sgpr_private_segment_wavefront_offset 0
		.amdhsa_system_sgpr_workgroup_id_x 1
		.amdhsa_system_sgpr_workgroup_id_y 0
		.amdhsa_system_sgpr_workgroup_id_z 0
		.amdhsa_system_sgpr_workgroup_info 0
		.amdhsa_system_vgpr_workitem_id 0
		.amdhsa_next_free_vgpr 15
		.amdhsa_next_free_sgpr 15
		.amdhsa_reserve_vcc 1
		.amdhsa_reserve_flat_scratch 0
		.amdhsa_float_round_mode_32 0
		.amdhsa_float_round_mode_16_64 0
		.amdhsa_float_denorm_mode_32 3
		.amdhsa_float_denorm_mode_16_64 3
		.amdhsa_dx10_clamp 1
		.amdhsa_ieee_mode 1
		.amdhsa_fp16_overflow 0
		.amdhsa_exception_fp_ieee_invalid_op 0
		.amdhsa_exception_fp_denorm_src 0
		.amdhsa_exception_fp_ieee_div_zero 0
		.amdhsa_exception_fp_ieee_overflow 0
		.amdhsa_exception_fp_ieee_underflow 0
		.amdhsa_exception_fp_ieee_inexact 0
		.amdhsa_exception_int_div_zero 0
	.end_amdhsa_kernel
	.section	.text._Z6kernelI20flag_heads_and_tailsxLj256ELj3ELb0ELj100EEvPKT0_PS1_,"axG",@progbits,_Z6kernelI20flag_heads_and_tailsxLj256ELj3ELb0ELj100EEvPKT0_PS1_,comdat
.Lfunc_end112:
	.size	_Z6kernelI20flag_heads_and_tailsxLj256ELj3ELb0ELj100EEvPKT0_PS1_, .Lfunc_end112-_Z6kernelI20flag_heads_and_tailsxLj256ELj3ELb0ELj100EEvPKT0_PS1_
                                        ; -- End function
	.set _Z6kernelI20flag_heads_and_tailsxLj256ELj3ELb0ELj100EEvPKT0_PS1_.num_vgpr, 15
	.set _Z6kernelI20flag_heads_and_tailsxLj256ELj3ELb0ELj100EEvPKT0_PS1_.num_agpr, 0
	.set _Z6kernelI20flag_heads_and_tailsxLj256ELj3ELb0ELj100EEvPKT0_PS1_.numbered_sgpr, 15
	.set _Z6kernelI20flag_heads_and_tailsxLj256ELj3ELb0ELj100EEvPKT0_PS1_.num_named_barrier, 0
	.set _Z6kernelI20flag_heads_and_tailsxLj256ELj3ELb0ELj100EEvPKT0_PS1_.private_seg_size, 0
	.set _Z6kernelI20flag_heads_and_tailsxLj256ELj3ELb0ELj100EEvPKT0_PS1_.uses_vcc, 1
	.set _Z6kernelI20flag_heads_and_tailsxLj256ELj3ELb0ELj100EEvPKT0_PS1_.uses_flat_scratch, 0
	.set _Z6kernelI20flag_heads_and_tailsxLj256ELj3ELb0ELj100EEvPKT0_PS1_.has_dyn_sized_stack, 0
	.set _Z6kernelI20flag_heads_and_tailsxLj256ELj3ELb0ELj100EEvPKT0_PS1_.has_recursion, 0
	.set _Z6kernelI20flag_heads_and_tailsxLj256ELj3ELb0ELj100EEvPKT0_PS1_.has_indirect_call, 0
	.section	.AMDGPU.csdata,"",@progbits
; Kernel info:
; codeLenInByte = 424
; TotalNumSgprs: 19
; NumVgprs: 15
; ScratchSize: 0
; MemoryBound: 0
; FloatMode: 240
; IeeeMode: 1
; LDSByteSize: 4096 bytes/workgroup (compile time only)
; SGPRBlocks: 2
; VGPRBlocks: 3
; NumSGPRsForWavesPerEU: 19
; NumVGPRsForWavesPerEU: 15
; Occupancy: 10
; WaveLimiterHint : 1
; COMPUTE_PGM_RSRC2:SCRATCH_EN: 0
; COMPUTE_PGM_RSRC2:USER_SGPR: 6
; COMPUTE_PGM_RSRC2:TRAP_HANDLER: 0
; COMPUTE_PGM_RSRC2:TGID_X_EN: 1
; COMPUTE_PGM_RSRC2:TGID_Y_EN: 0
; COMPUTE_PGM_RSRC2:TGID_Z_EN: 0
; COMPUTE_PGM_RSRC2:TIDIG_COMP_CNT: 0
	.section	.text._Z6kernelI20flag_heads_and_tailsxLj256ELj4ELb0ELj100EEvPKT0_PS1_,"axG",@progbits,_Z6kernelI20flag_heads_and_tailsxLj256ELj4ELb0ELj100EEvPKT0_PS1_,comdat
	.protected	_Z6kernelI20flag_heads_and_tailsxLj256ELj4ELb0ELj100EEvPKT0_PS1_ ; -- Begin function _Z6kernelI20flag_heads_and_tailsxLj256ELj4ELb0ELj100EEvPKT0_PS1_
	.globl	_Z6kernelI20flag_heads_and_tailsxLj256ELj4ELb0ELj100EEvPKT0_PS1_
	.p2align	8
	.type	_Z6kernelI20flag_heads_and_tailsxLj256ELj4ELb0ELj100EEvPKT0_PS1_,@function
_Z6kernelI20flag_heads_and_tailsxLj256ELj4ELb0ELj100EEvPKT0_PS1_: ; @_Z6kernelI20flag_heads_and_tailsxLj256ELj4ELb0ELj100EEvPKT0_PS1_
; %bb.0:
	s_load_dwordx4 s[8:11], s[4:5], 0x0
	s_lshl_b32 s4, s6, 10
	s_mov_b32 s5, 0
	s_lshl_b64 s[6:7], s[4:5], 3
	v_lshlrev_b32_e32 v13, 3, v0
	s_waitcnt lgkmcnt(0)
	s_add_u32 s0, s8, s6
	s_addc_u32 s1, s9, s7
	v_mov_b32_e32 v1, s1
	v_add_co_u32_e32 v2, vcc, s0, v13
	v_addc_co_u32_e32 v1, vcc, 0, v1, vcc
	v_add_co_u32_e32 v9, vcc, 0x1000, v2
	v_addc_co_u32_e32 v10, vcc, 0, v1, vcc
	global_load_dwordx2 v[5:6], v13, s[0:1]
	global_load_dwordx2 v[7:8], v13, s[0:1] offset:2048
	global_load_dwordx2 v[3:4], v[9:10], off
	global_load_dwordx2 v[1:2], v[9:10], off offset:2048
	s_movk_i32 s0, 0xff
	v_cmp_ne_u32_e32 vcc, 0, v0
	v_cmp_ne_u32_e64 s[0:1], s0, v0
	v_add_u32_e32 v14, -8, v13
	s_movk_i32 s4, 0x64
	s_branch .LBB113_2
.LBB113_1:                              ;   in Loop: Header=BB113_2 Depth=1
	s_or_b64 exec, exec, s[8:9]
	v_cmp_eq_u64_e64 s[2:3], v[5:6], v[7:8]
	s_add_i32 s4, s4, -1
	v_cndmask_b32_e64 v15, 0, 1, s[2:3]
	v_add_co_u32_e64 v5, s[2:3], v5, v15
	v_addc_co_u32_e64 v6, s[2:3], 0, v6, s[2:3]
	v_add_co_u32_e64 v5, s[2:3], v5, v11
	v_addc_co_u32_e64 v6, s[2:3], v6, v12, s[2:3]
	;; [unrolled: 2-line block ×3, first 2 shown]
	v_cmp_eq_u64_e64 s[2:3], v[7:8], v[3:4]
	s_cmp_lg_u32 s4, 0
	v_cndmask_b32_e64 v15, 0, 1, s[2:3]
	v_add_co_u32_e64 v7, s[2:3], v11, v15
	v_addc_co_u32_e64 v8, s[2:3], 0, v12, s[2:3]
	v_add_co_u32_e64 v11, s[2:3], v3, v15
	v_addc_co_u32_e64 v12, s[2:3], 0, v4, s[2:3]
	v_cmp_eq_u64_e64 s[2:3], v[3:4], v[1:2]
	v_cndmask_b32_e64 v15, 0, 1, s[2:3]
	v_add_co_u32_e64 v3, s[2:3], v11, v15
	v_addc_co_u32_e64 v4, s[2:3], 0, v12, s[2:3]
	v_add_co_u32_e64 v1, s[2:3], v1, v15
	v_addc_co_u32_e64 v2, s[2:3], 0, v2, s[2:3]
	;; [unrolled: 2-line block ×3, first 2 shown]
	s_barrier
	s_cbranch_scc0 .LBB113_6
.LBB113_2:                              ; =>This Inner Loop Header: Depth=1
	v_mov_b32_e32 v9, 1
	v_mov_b32_e32 v11, 1
	;; [unrolled: 1-line block ×4, first 2 shown]
	s_waitcnt vmcnt(0)
	ds_write_b64 v13, v[1:2]
	s_waitcnt lgkmcnt(0)
	s_barrier
	s_and_saveexec_b64 s[8:9], vcc
	s_cbranch_execz .LBB113_4
; %bb.3:                                ;   in Loop: Header=BB113_2 Depth=1
	ds_read_b64 v[11:12], v14
	s_waitcnt lgkmcnt(0)
	v_cmp_eq_u64_e64 s[2:3], v[11:12], v[5:6]
	v_mov_b32_e32 v12, s5
	v_cndmask_b32_e64 v11, 0, 1, s[2:3]
.LBB113_4:                              ;   in Loop: Header=BB113_2 Depth=1
	s_or_b64 exec, exec, s[8:9]
	ds_write_b64 v13, v[5:6] offset:2048
	s_waitcnt lgkmcnt(0)
	s_barrier
	s_and_saveexec_b64 s[8:9], s[0:1]
	s_cbranch_execz .LBB113_1
; %bb.5:                                ;   in Loop: Header=BB113_2 Depth=1
	ds_read_b64 v[9:10], v13 offset:2056
	s_waitcnt lgkmcnt(0)
	v_cmp_eq_u64_e64 s[2:3], v[1:2], v[9:10]
	v_mov_b32_e32 v10, s5
	v_cndmask_b32_e64 v9, 0, 1, s[2:3]
	s_branch .LBB113_1
.LBB113_6:
	s_add_u32 s0, s10, s6
	s_addc_u32 s1, s11, s7
	v_lshlrev_b32_e32 v0, 3, v0
	v_mov_b32_e32 v9, s1
	v_add_co_u32_e32 v10, vcc, s0, v0
	v_addc_co_u32_e32 v9, vcc, 0, v9, vcc
	global_store_dwordx2 v0, v[5:6], s[0:1]
	global_store_dwordx2 v0, v[7:8], s[0:1] offset:2048
	v_add_co_u32_e32 v5, vcc, 0x1000, v10
	v_addc_co_u32_e32 v6, vcc, 0, v9, vcc
	global_store_dwordx2 v[5:6], v[3:4], off
	global_store_dwordx2 v[5:6], v[1:2], off offset:2048
	s_endpgm
	.section	.rodata,"a",@progbits
	.p2align	6, 0x0
	.amdhsa_kernel _Z6kernelI20flag_heads_and_tailsxLj256ELj4ELb0ELj100EEvPKT0_PS1_
		.amdhsa_group_segment_fixed_size 4096
		.amdhsa_private_segment_fixed_size 0
		.amdhsa_kernarg_size 16
		.amdhsa_user_sgpr_count 6
		.amdhsa_user_sgpr_private_segment_buffer 1
		.amdhsa_user_sgpr_dispatch_ptr 0
		.amdhsa_user_sgpr_queue_ptr 0
		.amdhsa_user_sgpr_kernarg_segment_ptr 1
		.amdhsa_user_sgpr_dispatch_id 0
		.amdhsa_user_sgpr_flat_scratch_init 0
		.amdhsa_user_sgpr_private_segment_size 0
		.amdhsa_uses_dynamic_stack 0
		.amdhsa_system_sgpr_private_segment_wavefront_offset 0
		.amdhsa_system_sgpr_workgroup_id_x 1
		.amdhsa_system_sgpr_workgroup_id_y 0
		.amdhsa_system_sgpr_workgroup_id_z 0
		.amdhsa_system_sgpr_workgroup_info 0
		.amdhsa_system_vgpr_workitem_id 0
		.amdhsa_next_free_vgpr 16
		.amdhsa_next_free_sgpr 12
		.amdhsa_reserve_vcc 1
		.amdhsa_reserve_flat_scratch 0
		.amdhsa_float_round_mode_32 0
		.amdhsa_float_round_mode_16_64 0
		.amdhsa_float_denorm_mode_32 3
		.amdhsa_float_denorm_mode_16_64 3
		.amdhsa_dx10_clamp 1
		.amdhsa_ieee_mode 1
		.amdhsa_fp16_overflow 0
		.amdhsa_exception_fp_ieee_invalid_op 0
		.amdhsa_exception_fp_denorm_src 0
		.amdhsa_exception_fp_ieee_div_zero 0
		.amdhsa_exception_fp_ieee_overflow 0
		.amdhsa_exception_fp_ieee_underflow 0
		.amdhsa_exception_fp_ieee_inexact 0
		.amdhsa_exception_int_div_zero 0
	.end_amdhsa_kernel
	.section	.text._Z6kernelI20flag_heads_and_tailsxLj256ELj4ELb0ELj100EEvPKT0_PS1_,"axG",@progbits,_Z6kernelI20flag_heads_and_tailsxLj256ELj4ELb0ELj100EEvPKT0_PS1_,comdat
.Lfunc_end113:
	.size	_Z6kernelI20flag_heads_and_tailsxLj256ELj4ELb0ELj100EEvPKT0_PS1_, .Lfunc_end113-_Z6kernelI20flag_heads_and_tailsxLj256ELj4ELb0ELj100EEvPKT0_PS1_
                                        ; -- End function
	.set _Z6kernelI20flag_heads_and_tailsxLj256ELj4ELb0ELj100EEvPKT0_PS1_.num_vgpr, 16
	.set _Z6kernelI20flag_heads_and_tailsxLj256ELj4ELb0ELj100EEvPKT0_PS1_.num_agpr, 0
	.set _Z6kernelI20flag_heads_and_tailsxLj256ELj4ELb0ELj100EEvPKT0_PS1_.numbered_sgpr, 12
	.set _Z6kernelI20flag_heads_and_tailsxLj256ELj4ELb0ELj100EEvPKT0_PS1_.num_named_barrier, 0
	.set _Z6kernelI20flag_heads_and_tailsxLj256ELj4ELb0ELj100EEvPKT0_PS1_.private_seg_size, 0
	.set _Z6kernelI20flag_heads_and_tailsxLj256ELj4ELb0ELj100EEvPKT0_PS1_.uses_vcc, 1
	.set _Z6kernelI20flag_heads_and_tailsxLj256ELj4ELb0ELj100EEvPKT0_PS1_.uses_flat_scratch, 0
	.set _Z6kernelI20flag_heads_and_tailsxLj256ELj4ELb0ELj100EEvPKT0_PS1_.has_dyn_sized_stack, 0
	.set _Z6kernelI20flag_heads_and_tailsxLj256ELj4ELb0ELj100EEvPKT0_PS1_.has_recursion, 0
	.set _Z6kernelI20flag_heads_and_tailsxLj256ELj4ELb0ELj100EEvPKT0_PS1_.has_indirect_call, 0
	.section	.AMDGPU.csdata,"",@progbits
; Kernel info:
; codeLenInByte = 528
; TotalNumSgprs: 16
; NumVgprs: 16
; ScratchSize: 0
; MemoryBound: 0
; FloatMode: 240
; IeeeMode: 1
; LDSByteSize: 4096 bytes/workgroup (compile time only)
; SGPRBlocks: 1
; VGPRBlocks: 3
; NumSGPRsForWavesPerEU: 16
; NumVGPRsForWavesPerEU: 16
; Occupancy: 10
; WaveLimiterHint : 1
; COMPUTE_PGM_RSRC2:SCRATCH_EN: 0
; COMPUTE_PGM_RSRC2:USER_SGPR: 6
; COMPUTE_PGM_RSRC2:TRAP_HANDLER: 0
; COMPUTE_PGM_RSRC2:TGID_X_EN: 1
; COMPUTE_PGM_RSRC2:TGID_Y_EN: 0
; COMPUTE_PGM_RSRC2:TGID_Z_EN: 0
; COMPUTE_PGM_RSRC2:TIDIG_COMP_CNT: 0
	.section	.text._Z6kernelI20flag_heads_and_tailsxLj256ELj8ELb0ELj100EEvPKT0_PS1_,"axG",@progbits,_Z6kernelI20flag_heads_and_tailsxLj256ELj8ELb0ELj100EEvPKT0_PS1_,comdat
	.protected	_Z6kernelI20flag_heads_and_tailsxLj256ELj8ELb0ELj100EEvPKT0_PS1_ ; -- Begin function _Z6kernelI20flag_heads_and_tailsxLj256ELj8ELb0ELj100EEvPKT0_PS1_
	.globl	_Z6kernelI20flag_heads_and_tailsxLj256ELj8ELb0ELj100EEvPKT0_PS1_
	.p2align	8
	.type	_Z6kernelI20flag_heads_and_tailsxLj256ELj8ELb0ELj100EEvPKT0_PS1_,@function
_Z6kernelI20flag_heads_and_tailsxLj256ELj8ELb0ELj100EEvPKT0_PS1_: ; @_Z6kernelI20flag_heads_and_tailsxLj256ELj8ELb0ELj100EEvPKT0_PS1_
; %bb.0:
	s_load_dwordx4 s[8:11], s[4:5], 0x0
	s_lshl_b32 s4, s6, 11
	s_mov_b32 s5, 0
	s_lshl_b64 s[6:7], s[4:5], 3
	v_lshlrev_b32_e32 v21, 3, v0
	s_waitcnt lgkmcnt(0)
	s_add_u32 s0, s8, s6
	s_addc_u32 s1, s9, s7
	v_mov_b32_e32 v1, s1
	v_add_co_u32_e32 v2, vcc, s0, v21
	v_addc_co_u32_e32 v1, vcc, 0, v1, vcc
	s_movk_i32 s2, 0x1000
	v_add_co_u32_e32 v17, vcc, s2, v2
	v_addc_co_u32_e32 v18, vcc, 0, v1, vcc
	s_movk_i32 s2, 0x2000
	v_add_co_u32_e32 v19, vcc, s2, v2
	v_addc_co_u32_e32 v20, vcc, 0, v1, vcc
	v_add_co_u32_e32 v22, vcc, 0x3000, v2
	v_addc_co_u32_e32 v23, vcc, 0, v1, vcc
	global_load_dwordx2 v[13:14], v21, s[0:1]
	global_load_dwordx2 v[15:16], v21, s[0:1] offset:2048
	global_load_dwordx2 v[9:10], v[17:18], off offset:2048
	global_load_dwordx2 v[1:2], v[22:23], off
	global_load_dwordx2 v[11:12], v[19:20], off offset:-4096
	global_load_dwordx2 v[5:6], v[19:20], off
	global_load_dwordx2 v[7:8], v[19:20], off offset:2048
	global_load_dwordx2 v[3:4], v[22:23], off offset:2048
	s_movk_i32 s0, 0xff
	v_cmp_ne_u32_e32 vcc, 0, v0
	v_cmp_ne_u32_e64 s[0:1], s0, v0
	v_add_u32_e32 v22, -8, v21
	s_movk_i32 s4, 0x64
	s_branch .LBB114_2
.LBB114_1:                              ;   in Loop: Header=BB114_2 Depth=1
	s_or_b64 exec, exec, s[8:9]
	v_cmp_eq_u64_e64 s[2:3], v[13:14], v[15:16]
	s_add_i32 s4, s4, -1
	v_cndmask_b32_e64 v23, 0, 1, s[2:3]
	v_add_co_u32_e64 v13, s[2:3], v13, v23
	v_addc_co_u32_e64 v14, s[2:3], 0, v14, s[2:3]
	v_add_co_u32_e64 v13, s[2:3], v13, v19
	v_addc_co_u32_e64 v14, s[2:3], v14, v20, s[2:3]
	v_cmp_eq_u64_e64 s[2:3], v[1:2], v[3:4]
	s_cmp_lg_u32 s4, 0
	v_cndmask_b32_e64 v19, 0, 1, s[2:3]
	v_add_co_u32_e64 v3, s[2:3], v3, v19
	v_addc_co_u32_e64 v4, s[2:3], 0, v4, s[2:3]
	v_add_co_u32_e64 v3, s[2:3], v3, v17
	v_addc_co_u32_e64 v4, s[2:3], v4, v18, s[2:3]
	v_cmp_eq_u64_e64 s[2:3], v[15:16], v[11:12]
	v_cndmask_b32_e64 v17, 0, 1, s[2:3]
	v_cmp_eq_u64_e64 s[2:3], v[11:12], v[9:10]
	s_barrier
	v_cndmask_b32_e64 v18, 0, 1, s[2:3]
	v_cmp_eq_u64_e64 s[2:3], v[9:10], v[5:6]
	v_cndmask_b32_e64 v20, 0, 1, s[2:3]
	v_cmp_eq_u64_e64 s[2:3], v[5:6], v[7:8]
	;; [unrolled: 2-line block ×3, first 2 shown]
	v_cndmask_b32_e64 v25, 0, 1, s[2:3]
	v_add_co_u32_e64 v15, s[2:3], v15, v23
	v_addc_co_u32_e64 v16, s[2:3], 0, v16, s[2:3]
	v_add_co_u32_e64 v15, s[2:3], v15, v17
	v_addc_co_u32_e64 v16, s[2:3], 0, v16, s[2:3]
	;; [unrolled: 2-line block ×12, first 2 shown]
	s_cbranch_scc0 .LBB114_6
.LBB114_2:                              ; =>This Inner Loop Header: Depth=1
	v_mov_b32_e32 v17, 1
	v_mov_b32_e32 v19, 1
	;; [unrolled: 1-line block ×4, first 2 shown]
	s_waitcnt vmcnt(0)
	ds_write_b64 v21, v[3:4]
	s_waitcnt lgkmcnt(0)
	s_barrier
	s_and_saveexec_b64 s[8:9], vcc
	s_cbranch_execz .LBB114_4
; %bb.3:                                ;   in Loop: Header=BB114_2 Depth=1
	ds_read_b64 v[19:20], v22
	s_waitcnt lgkmcnt(0)
	v_cmp_eq_u64_e64 s[2:3], v[19:20], v[13:14]
	v_mov_b32_e32 v20, s5
	v_cndmask_b32_e64 v19, 0, 1, s[2:3]
.LBB114_4:                              ;   in Loop: Header=BB114_2 Depth=1
	s_or_b64 exec, exec, s[8:9]
	ds_write_b64 v21, v[13:14] offset:2048
	s_waitcnt lgkmcnt(0)
	s_barrier
	s_and_saveexec_b64 s[8:9], s[0:1]
	s_cbranch_execz .LBB114_1
; %bb.5:                                ;   in Loop: Header=BB114_2 Depth=1
	ds_read_b64 v[17:18], v21 offset:2056
	s_waitcnt lgkmcnt(0)
	v_cmp_eq_u64_e64 s[2:3], v[3:4], v[17:18]
	v_mov_b32_e32 v18, s5
	v_cndmask_b32_e64 v17, 0, 1, s[2:3]
	s_branch .LBB114_1
.LBB114_6:
	s_add_u32 s0, s10, s6
	s_addc_u32 s1, s11, s7
	v_lshlrev_b32_e32 v0, 3, v0
	v_mov_b32_e32 v17, s1
	v_add_co_u32_e32 v18, vcc, s0, v0
	v_addc_co_u32_e32 v17, vcc, 0, v17, vcc
	global_store_dwordx2 v0, v[13:14], s[0:1]
	global_store_dwordx2 v0, v[15:16], s[0:1] offset:2048
	v_add_co_u32_e32 v13, vcc, 0x1000, v18
	v_addc_co_u32_e32 v14, vcc, 0, v17, vcc
	global_store_dwordx2 v[13:14], v[11:12], off
	global_store_dwordx2 v[13:14], v[9:10], off offset:2048
	v_add_co_u32_e32 v9, vcc, 0x2000, v18
	v_addc_co_u32_e32 v10, vcc, 0, v17, vcc
	global_store_dwordx2 v[9:10], v[5:6], off
	global_store_dwordx2 v[9:10], v[7:8], off offset:2048
	;; [unrolled: 4-line block ×3, first 2 shown]
	s_endpgm
	.section	.rodata,"a",@progbits
	.p2align	6, 0x0
	.amdhsa_kernel _Z6kernelI20flag_heads_and_tailsxLj256ELj8ELb0ELj100EEvPKT0_PS1_
		.amdhsa_group_segment_fixed_size 4096
		.amdhsa_private_segment_fixed_size 0
		.amdhsa_kernarg_size 16
		.amdhsa_user_sgpr_count 6
		.amdhsa_user_sgpr_private_segment_buffer 1
		.amdhsa_user_sgpr_dispatch_ptr 0
		.amdhsa_user_sgpr_queue_ptr 0
		.amdhsa_user_sgpr_kernarg_segment_ptr 1
		.amdhsa_user_sgpr_dispatch_id 0
		.amdhsa_user_sgpr_flat_scratch_init 0
		.amdhsa_user_sgpr_private_segment_size 0
		.amdhsa_uses_dynamic_stack 0
		.amdhsa_system_sgpr_private_segment_wavefront_offset 0
		.amdhsa_system_sgpr_workgroup_id_x 1
		.amdhsa_system_sgpr_workgroup_id_y 0
		.amdhsa_system_sgpr_workgroup_id_z 0
		.amdhsa_system_sgpr_workgroup_info 0
		.amdhsa_system_vgpr_workitem_id 0
		.amdhsa_next_free_vgpr 26
		.amdhsa_next_free_sgpr 12
		.amdhsa_reserve_vcc 1
		.amdhsa_reserve_flat_scratch 0
		.amdhsa_float_round_mode_32 0
		.amdhsa_float_round_mode_16_64 0
		.amdhsa_float_denorm_mode_32 3
		.amdhsa_float_denorm_mode_16_64 3
		.amdhsa_dx10_clamp 1
		.amdhsa_ieee_mode 1
		.amdhsa_fp16_overflow 0
		.amdhsa_exception_fp_ieee_invalid_op 0
		.amdhsa_exception_fp_denorm_src 0
		.amdhsa_exception_fp_ieee_div_zero 0
		.amdhsa_exception_fp_ieee_overflow 0
		.amdhsa_exception_fp_ieee_underflow 0
		.amdhsa_exception_fp_ieee_inexact 0
		.amdhsa_exception_int_div_zero 0
	.end_amdhsa_kernel
	.section	.text._Z6kernelI20flag_heads_and_tailsxLj256ELj8ELb0ELj100EEvPKT0_PS1_,"axG",@progbits,_Z6kernelI20flag_heads_and_tailsxLj256ELj8ELb0ELj100EEvPKT0_PS1_,comdat
.Lfunc_end114:
	.size	_Z6kernelI20flag_heads_and_tailsxLj256ELj8ELb0ELj100EEvPKT0_PS1_, .Lfunc_end114-_Z6kernelI20flag_heads_and_tailsxLj256ELj8ELb0ELj100EEvPKT0_PS1_
                                        ; -- End function
	.set _Z6kernelI20flag_heads_and_tailsxLj256ELj8ELb0ELj100EEvPKT0_PS1_.num_vgpr, 26
	.set _Z6kernelI20flag_heads_and_tailsxLj256ELj8ELb0ELj100EEvPKT0_PS1_.num_agpr, 0
	.set _Z6kernelI20flag_heads_and_tailsxLj256ELj8ELb0ELj100EEvPKT0_PS1_.numbered_sgpr, 12
	.set _Z6kernelI20flag_heads_and_tailsxLj256ELj8ELb0ELj100EEvPKT0_PS1_.num_named_barrier, 0
	.set _Z6kernelI20flag_heads_and_tailsxLj256ELj8ELb0ELj100EEvPKT0_PS1_.private_seg_size, 0
	.set _Z6kernelI20flag_heads_and_tailsxLj256ELj8ELb0ELj100EEvPKT0_PS1_.uses_vcc, 1
	.set _Z6kernelI20flag_heads_and_tailsxLj256ELj8ELb0ELj100EEvPKT0_PS1_.uses_flat_scratch, 0
	.set _Z6kernelI20flag_heads_and_tailsxLj256ELj8ELb0ELj100EEvPKT0_PS1_.has_dyn_sized_stack, 0
	.set _Z6kernelI20flag_heads_and_tailsxLj256ELj8ELb0ELj100EEvPKT0_PS1_.has_recursion, 0
	.set _Z6kernelI20flag_heads_and_tailsxLj256ELj8ELb0ELj100EEvPKT0_PS1_.has_indirect_call, 0
	.section	.AMDGPU.csdata,"",@progbits
; Kernel info:
; codeLenInByte = 832
; TotalNumSgprs: 16
; NumVgprs: 26
; ScratchSize: 0
; MemoryBound: 0
; FloatMode: 240
; IeeeMode: 1
; LDSByteSize: 4096 bytes/workgroup (compile time only)
; SGPRBlocks: 1
; VGPRBlocks: 6
; NumSGPRsForWavesPerEU: 16
; NumVGPRsForWavesPerEU: 26
; Occupancy: 9
; WaveLimiterHint : 1
; COMPUTE_PGM_RSRC2:SCRATCH_EN: 0
; COMPUTE_PGM_RSRC2:USER_SGPR: 6
; COMPUTE_PGM_RSRC2:TRAP_HANDLER: 0
; COMPUTE_PGM_RSRC2:TGID_X_EN: 1
; COMPUTE_PGM_RSRC2:TGID_Y_EN: 0
; COMPUTE_PGM_RSRC2:TGID_Z_EN: 0
; COMPUTE_PGM_RSRC2:TIDIG_COMP_CNT: 0
	.section	.text._Z6kernelI20flag_heads_and_tailsxLj256ELj1ELb1ELj100EEvPKT0_PS1_,"axG",@progbits,_Z6kernelI20flag_heads_and_tailsxLj256ELj1ELb1ELj100EEvPKT0_PS1_,comdat
	.protected	_Z6kernelI20flag_heads_and_tailsxLj256ELj1ELb1ELj100EEvPKT0_PS1_ ; -- Begin function _Z6kernelI20flag_heads_and_tailsxLj256ELj1ELb1ELj100EEvPKT0_PS1_
	.globl	_Z6kernelI20flag_heads_and_tailsxLj256ELj1ELb1ELj100EEvPKT0_PS1_
	.p2align	8
	.type	_Z6kernelI20flag_heads_and_tailsxLj256ELj1ELb1ELj100EEvPKT0_PS1_,@function
_Z6kernelI20flag_heads_and_tailsxLj256ELj1ELb1ELj100EEvPKT0_PS1_: ; @_Z6kernelI20flag_heads_and_tailsxLj256ELj1ELb1ELj100EEvPKT0_PS1_
; %bb.0:
	s_load_dwordx4 s[8:11], s[4:5], 0x0
	s_lshl_b32 s0, s6, 8
	s_mov_b32 s1, 0
	s_lshl_b64 s[4:5], s[0:1], 3
	v_lshlrev_b32_e32 v7, 3, v0
	s_waitcnt lgkmcnt(0)
	s_add_u32 s0, s8, s4
	s_addc_u32 s1, s9, s5
	global_load_dwordx2 v[1:2], v7, s[0:1]
	s_movk_i32 s0, 0xff
	v_cmp_ne_u32_e32 vcc, 0, v0
	v_cmp_ne_u32_e64 s[0:1], s0, v0
	v_add_u32_e32 v8, -8, v7
	s_movk_i32 s6, 0x64
	s_branch .LBB115_2
.LBB115_1:                              ;   in Loop: Header=BB115_2 Depth=1
	s_or_b64 exec, exec, s[2:3]
	v_cmp_eq_u64_e64 s[2:3], v[3:4], v[1:2]
	s_add_i32 s6, s6, -1
	v_cndmask_b32_e64 v3, 0, 1, s[2:3]
	s_waitcnt lgkmcnt(0)
	v_cmp_eq_u64_e64 s[2:3], v[1:2], v[5:6]
	s_cmp_lg_u32 s6, 0
	v_cndmask_b32_e64 v4, 0, 1, s[2:3]
	v_add_co_u32_e64 v1, s[2:3], v1, v3
	v_addc_co_u32_e64 v2, s[2:3], 0, v2, s[2:3]
	v_add_co_u32_e64 v1, s[2:3], v1, v4
	v_addc_co_u32_e64 v2, s[2:3], 0, v2, s[2:3]
	s_barrier
	s_cbranch_scc0 .LBB115_6
.LBB115_2:                              ; =>This Inner Loop Header: Depth=1
	v_mov_b32_e32 v3, 0x7b
	v_mov_b32_e32 v4, 0
	s_waitcnt vmcnt(0)
	ds_write_b64 v7, v[1:2]
	s_waitcnt lgkmcnt(0)
	s_barrier
	s_and_saveexec_b64 s[2:3], vcc
; %bb.3:                                ;   in Loop: Header=BB115_2 Depth=1
	ds_read_b64 v[3:4], v8
; %bb.4:                                ;   in Loop: Header=BB115_2 Depth=1
	s_or_b64 exec, exec, s[2:3]
	v_mov_b32_e32 v5, 0xea
	v_mov_b32_e32 v6, 0
	ds_write_b64 v7, v[1:2] offset:2048
	s_waitcnt lgkmcnt(0)
	s_barrier
	s_and_saveexec_b64 s[2:3], s[0:1]
	s_cbranch_execz .LBB115_1
; %bb.5:                                ;   in Loop: Header=BB115_2 Depth=1
	ds_read_b64 v[5:6], v7 offset:2056
	s_branch .LBB115_1
.LBB115_6:
	s_add_u32 s0, s10, s4
	s_addc_u32 s1, s11, s5
	v_lshlrev_b32_e32 v0, 3, v0
	global_store_dwordx2 v0, v[1:2], s[0:1]
	s_endpgm
	.section	.rodata,"a",@progbits
	.p2align	6, 0x0
	.amdhsa_kernel _Z6kernelI20flag_heads_and_tailsxLj256ELj1ELb1ELj100EEvPKT0_PS1_
		.amdhsa_group_segment_fixed_size 4096
		.amdhsa_private_segment_fixed_size 0
		.amdhsa_kernarg_size 16
		.amdhsa_user_sgpr_count 6
		.amdhsa_user_sgpr_private_segment_buffer 1
		.amdhsa_user_sgpr_dispatch_ptr 0
		.amdhsa_user_sgpr_queue_ptr 0
		.amdhsa_user_sgpr_kernarg_segment_ptr 1
		.amdhsa_user_sgpr_dispatch_id 0
		.amdhsa_user_sgpr_flat_scratch_init 0
		.amdhsa_user_sgpr_private_segment_size 0
		.amdhsa_uses_dynamic_stack 0
		.amdhsa_system_sgpr_private_segment_wavefront_offset 0
		.amdhsa_system_sgpr_workgroup_id_x 1
		.amdhsa_system_sgpr_workgroup_id_y 0
		.amdhsa_system_sgpr_workgroup_id_z 0
		.amdhsa_system_sgpr_workgroup_info 0
		.amdhsa_system_vgpr_workitem_id 0
		.amdhsa_next_free_vgpr 9
		.amdhsa_next_free_sgpr 12
		.amdhsa_reserve_vcc 1
		.amdhsa_reserve_flat_scratch 0
		.amdhsa_float_round_mode_32 0
		.amdhsa_float_round_mode_16_64 0
		.amdhsa_float_denorm_mode_32 3
		.amdhsa_float_denorm_mode_16_64 3
		.amdhsa_dx10_clamp 1
		.amdhsa_ieee_mode 1
		.amdhsa_fp16_overflow 0
		.amdhsa_exception_fp_ieee_invalid_op 0
		.amdhsa_exception_fp_denorm_src 0
		.amdhsa_exception_fp_ieee_div_zero 0
		.amdhsa_exception_fp_ieee_overflow 0
		.amdhsa_exception_fp_ieee_underflow 0
		.amdhsa_exception_fp_ieee_inexact 0
		.amdhsa_exception_int_div_zero 0
	.end_amdhsa_kernel
	.section	.text._Z6kernelI20flag_heads_and_tailsxLj256ELj1ELb1ELj100EEvPKT0_PS1_,"axG",@progbits,_Z6kernelI20flag_heads_and_tailsxLj256ELj1ELb1ELj100EEvPKT0_PS1_,comdat
.Lfunc_end115:
	.size	_Z6kernelI20flag_heads_and_tailsxLj256ELj1ELb1ELj100EEvPKT0_PS1_, .Lfunc_end115-_Z6kernelI20flag_heads_and_tailsxLj256ELj1ELb1ELj100EEvPKT0_PS1_
                                        ; -- End function
	.set _Z6kernelI20flag_heads_and_tailsxLj256ELj1ELb1ELj100EEvPKT0_PS1_.num_vgpr, 9
	.set _Z6kernelI20flag_heads_and_tailsxLj256ELj1ELb1ELj100EEvPKT0_PS1_.num_agpr, 0
	.set _Z6kernelI20flag_heads_and_tailsxLj256ELj1ELb1ELj100EEvPKT0_PS1_.numbered_sgpr, 12
	.set _Z6kernelI20flag_heads_and_tailsxLj256ELj1ELb1ELj100EEvPKT0_PS1_.num_named_barrier, 0
	.set _Z6kernelI20flag_heads_and_tailsxLj256ELj1ELb1ELj100EEvPKT0_PS1_.private_seg_size, 0
	.set _Z6kernelI20flag_heads_and_tailsxLj256ELj1ELb1ELj100EEvPKT0_PS1_.uses_vcc, 1
	.set _Z6kernelI20flag_heads_and_tailsxLj256ELj1ELb1ELj100EEvPKT0_PS1_.uses_flat_scratch, 0
	.set _Z6kernelI20flag_heads_and_tailsxLj256ELj1ELb1ELj100EEvPKT0_PS1_.has_dyn_sized_stack, 0
	.set _Z6kernelI20flag_heads_and_tailsxLj256ELj1ELb1ELj100EEvPKT0_PS1_.has_recursion, 0
	.set _Z6kernelI20flag_heads_and_tailsxLj256ELj1ELb1ELj100EEvPKT0_PS1_.has_indirect_call, 0
	.section	.AMDGPU.csdata,"",@progbits
; Kernel info:
; codeLenInByte = 280
; TotalNumSgprs: 16
; NumVgprs: 9
; ScratchSize: 0
; MemoryBound: 0
; FloatMode: 240
; IeeeMode: 1
; LDSByteSize: 4096 bytes/workgroup (compile time only)
; SGPRBlocks: 1
; VGPRBlocks: 2
; NumSGPRsForWavesPerEU: 16
; NumVGPRsForWavesPerEU: 9
; Occupancy: 10
; WaveLimiterHint : 0
; COMPUTE_PGM_RSRC2:SCRATCH_EN: 0
; COMPUTE_PGM_RSRC2:USER_SGPR: 6
; COMPUTE_PGM_RSRC2:TRAP_HANDLER: 0
; COMPUTE_PGM_RSRC2:TGID_X_EN: 1
; COMPUTE_PGM_RSRC2:TGID_Y_EN: 0
; COMPUTE_PGM_RSRC2:TGID_Z_EN: 0
; COMPUTE_PGM_RSRC2:TIDIG_COMP_CNT: 0
	.section	.text._Z6kernelI20flag_heads_and_tailsxLj256ELj2ELb1ELj100EEvPKT0_PS1_,"axG",@progbits,_Z6kernelI20flag_heads_and_tailsxLj256ELj2ELb1ELj100EEvPKT0_PS1_,comdat
	.protected	_Z6kernelI20flag_heads_and_tailsxLj256ELj2ELb1ELj100EEvPKT0_PS1_ ; -- Begin function _Z6kernelI20flag_heads_and_tailsxLj256ELj2ELb1ELj100EEvPKT0_PS1_
	.globl	_Z6kernelI20flag_heads_and_tailsxLj256ELj2ELb1ELj100EEvPKT0_PS1_
	.p2align	8
	.type	_Z6kernelI20flag_heads_and_tailsxLj256ELj2ELb1ELj100EEvPKT0_PS1_,@function
_Z6kernelI20flag_heads_and_tailsxLj256ELj2ELb1ELj100EEvPKT0_PS1_: ; @_Z6kernelI20flag_heads_and_tailsxLj256ELj2ELb1ELj100EEvPKT0_PS1_
; %bb.0:
	s_load_dwordx4 s[8:11], s[4:5], 0x0
	s_lshl_b32 s0, s6, 9
	s_mov_b32 s1, 0
	s_lshl_b64 s[4:5], s[0:1], 3
	v_lshlrev_b32_e32 v9, 3, v0
	s_waitcnt lgkmcnt(0)
	s_add_u32 s0, s8, s4
	s_addc_u32 s1, s9, s5
	global_load_dwordx2 v[1:2], v9, s[0:1]
	global_load_dwordx2 v[3:4], v9, s[0:1] offset:2048
	s_movk_i32 s0, 0xff
	v_cmp_ne_u32_e32 vcc, 0, v0
	v_cmp_ne_u32_e64 s[0:1], s0, v0
	v_add_u32_e32 v10, -8, v9
	s_movk_i32 s6, 0x64
	s_branch .LBB116_2
.LBB116_1:                              ;   in Loop: Header=BB116_2 Depth=1
	s_or_b64 exec, exec, s[2:3]
	v_cmp_eq_u64_e64 s[2:3], v[5:6], v[1:2]
	s_add_i32 s6, s6, -1
	v_cndmask_b32_e64 v5, 0, 1, s[2:3]
	v_cmp_eq_u64_e64 s[2:3], v[1:2], v[3:4]
	s_cmp_lg_u32 s6, 0
	v_cndmask_b32_e64 v6, 0, 1, s[2:3]
	v_add_co_u32_e64 v1, s[2:3], v1, v6
	v_addc_co_u32_e64 v2, s[2:3], 0, v2, s[2:3]
	v_add_co_u32_e64 v1, s[2:3], v1, v5
	v_addc_co_u32_e64 v2, s[2:3], 0, v2, s[2:3]
	;; [unrolled: 2-line block ×3, first 2 shown]
	s_waitcnt lgkmcnt(0)
	v_cmp_eq_u64_e64 s[2:3], v[3:4], v[7:8]
	v_cndmask_b32_e64 v3, 0, 1, s[2:3]
	v_add_co_u32_e64 v3, s[2:3], v5, v3
	v_addc_co_u32_e64 v4, s[2:3], 0, v6, s[2:3]
	s_barrier
	s_cbranch_scc0 .LBB116_6
.LBB116_2:                              ; =>This Inner Loop Header: Depth=1
	v_mov_b32_e32 v5, 0x7b
	v_mov_b32_e32 v6, 0
	s_waitcnt vmcnt(0)
	ds_write_b64 v9, v[3:4]
	s_waitcnt lgkmcnt(0)
	s_barrier
	s_and_saveexec_b64 s[2:3], vcc
; %bb.3:                                ;   in Loop: Header=BB116_2 Depth=1
	ds_read_b64 v[5:6], v10
; %bb.4:                                ;   in Loop: Header=BB116_2 Depth=1
	s_or_b64 exec, exec, s[2:3]
	v_mov_b32_e32 v7, 0xea
	v_mov_b32_e32 v8, 0
	ds_write_b64 v9, v[1:2] offset:2048
	s_waitcnt lgkmcnt(0)
	s_barrier
	s_and_saveexec_b64 s[2:3], s[0:1]
	s_cbranch_execz .LBB116_1
; %bb.5:                                ;   in Loop: Header=BB116_2 Depth=1
	ds_read_b64 v[7:8], v9 offset:2056
	s_branch .LBB116_1
.LBB116_6:
	s_add_u32 s0, s10, s4
	s_addc_u32 s1, s11, s5
	v_lshlrev_b32_e32 v0, 3, v0
	global_store_dwordx2 v0, v[1:2], s[0:1]
	global_store_dwordx2 v0, v[3:4], s[0:1] offset:2048
	s_endpgm
	.section	.rodata,"a",@progbits
	.p2align	6, 0x0
	.amdhsa_kernel _Z6kernelI20flag_heads_and_tailsxLj256ELj2ELb1ELj100EEvPKT0_PS1_
		.amdhsa_group_segment_fixed_size 4096
		.amdhsa_private_segment_fixed_size 0
		.amdhsa_kernarg_size 16
		.amdhsa_user_sgpr_count 6
		.amdhsa_user_sgpr_private_segment_buffer 1
		.amdhsa_user_sgpr_dispatch_ptr 0
		.amdhsa_user_sgpr_queue_ptr 0
		.amdhsa_user_sgpr_kernarg_segment_ptr 1
		.amdhsa_user_sgpr_dispatch_id 0
		.amdhsa_user_sgpr_flat_scratch_init 0
		.amdhsa_user_sgpr_private_segment_size 0
		.amdhsa_uses_dynamic_stack 0
		.amdhsa_system_sgpr_private_segment_wavefront_offset 0
		.amdhsa_system_sgpr_workgroup_id_x 1
		.amdhsa_system_sgpr_workgroup_id_y 0
		.amdhsa_system_sgpr_workgroup_id_z 0
		.amdhsa_system_sgpr_workgroup_info 0
		.amdhsa_system_vgpr_workitem_id 0
		.amdhsa_next_free_vgpr 11
		.amdhsa_next_free_sgpr 12
		.amdhsa_reserve_vcc 1
		.amdhsa_reserve_flat_scratch 0
		.amdhsa_float_round_mode_32 0
		.amdhsa_float_round_mode_16_64 0
		.amdhsa_float_denorm_mode_32 3
		.amdhsa_float_denorm_mode_16_64 3
		.amdhsa_dx10_clamp 1
		.amdhsa_ieee_mode 1
		.amdhsa_fp16_overflow 0
		.amdhsa_exception_fp_ieee_invalid_op 0
		.amdhsa_exception_fp_denorm_src 0
		.amdhsa_exception_fp_ieee_div_zero 0
		.amdhsa_exception_fp_ieee_overflow 0
		.amdhsa_exception_fp_ieee_underflow 0
		.amdhsa_exception_fp_ieee_inexact 0
		.amdhsa_exception_int_div_zero 0
	.end_amdhsa_kernel
	.section	.text._Z6kernelI20flag_heads_and_tailsxLj256ELj2ELb1ELj100EEvPKT0_PS1_,"axG",@progbits,_Z6kernelI20flag_heads_and_tailsxLj256ELj2ELb1ELj100EEvPKT0_PS1_,comdat
.Lfunc_end116:
	.size	_Z6kernelI20flag_heads_and_tailsxLj256ELj2ELb1ELj100EEvPKT0_PS1_, .Lfunc_end116-_Z6kernelI20flag_heads_and_tailsxLj256ELj2ELb1ELj100EEvPKT0_PS1_
                                        ; -- End function
	.set _Z6kernelI20flag_heads_and_tailsxLj256ELj2ELb1ELj100EEvPKT0_PS1_.num_vgpr, 11
	.set _Z6kernelI20flag_heads_and_tailsxLj256ELj2ELb1ELj100EEvPKT0_PS1_.num_agpr, 0
	.set _Z6kernelI20flag_heads_and_tailsxLj256ELj2ELb1ELj100EEvPKT0_PS1_.numbered_sgpr, 12
	.set _Z6kernelI20flag_heads_and_tailsxLj256ELj2ELb1ELj100EEvPKT0_PS1_.num_named_barrier, 0
	.set _Z6kernelI20flag_heads_and_tailsxLj256ELj2ELb1ELj100EEvPKT0_PS1_.private_seg_size, 0
	.set _Z6kernelI20flag_heads_and_tailsxLj256ELj2ELb1ELj100EEvPKT0_PS1_.uses_vcc, 1
	.set _Z6kernelI20flag_heads_and_tailsxLj256ELj2ELb1ELj100EEvPKT0_PS1_.uses_flat_scratch, 0
	.set _Z6kernelI20flag_heads_and_tailsxLj256ELj2ELb1ELj100EEvPKT0_PS1_.has_dyn_sized_stack, 0
	.set _Z6kernelI20flag_heads_and_tailsxLj256ELj2ELb1ELj100EEvPKT0_PS1_.has_recursion, 0
	.set _Z6kernelI20flag_heads_and_tailsxLj256ELj2ELb1ELj100EEvPKT0_PS1_.has_indirect_call, 0
	.section	.AMDGPU.csdata,"",@progbits
; Kernel info:
; codeLenInByte = 344
; TotalNumSgprs: 16
; NumVgprs: 11
; ScratchSize: 0
; MemoryBound: 0
; FloatMode: 240
; IeeeMode: 1
; LDSByteSize: 4096 bytes/workgroup (compile time only)
; SGPRBlocks: 1
; VGPRBlocks: 2
; NumSGPRsForWavesPerEU: 16
; NumVGPRsForWavesPerEU: 11
; Occupancy: 10
; WaveLimiterHint : 1
; COMPUTE_PGM_RSRC2:SCRATCH_EN: 0
; COMPUTE_PGM_RSRC2:USER_SGPR: 6
; COMPUTE_PGM_RSRC2:TRAP_HANDLER: 0
; COMPUTE_PGM_RSRC2:TGID_X_EN: 1
; COMPUTE_PGM_RSRC2:TGID_Y_EN: 0
; COMPUTE_PGM_RSRC2:TGID_Z_EN: 0
; COMPUTE_PGM_RSRC2:TIDIG_COMP_CNT: 0
	.section	.text._Z6kernelI20flag_heads_and_tailsxLj256ELj3ELb1ELj100EEvPKT0_PS1_,"axG",@progbits,_Z6kernelI20flag_heads_and_tailsxLj256ELj3ELb1ELj100EEvPKT0_PS1_,comdat
	.protected	_Z6kernelI20flag_heads_and_tailsxLj256ELj3ELb1ELj100EEvPKT0_PS1_ ; -- Begin function _Z6kernelI20flag_heads_and_tailsxLj256ELj3ELb1ELj100EEvPKT0_PS1_
	.globl	_Z6kernelI20flag_heads_and_tailsxLj256ELj3ELb1ELj100EEvPKT0_PS1_
	.p2align	8
	.type	_Z6kernelI20flag_heads_and_tailsxLj256ELj3ELb1ELj100EEvPKT0_PS1_,@function
_Z6kernelI20flag_heads_and_tailsxLj256ELj3ELb1ELj100EEvPKT0_PS1_: ; @_Z6kernelI20flag_heads_and_tailsxLj256ELj3ELb1ELj100EEvPKT0_PS1_
; %bb.0:
	s_load_dwordx4 s[8:11], s[4:5], 0x0
	s_mul_i32 s0, s6, 0x300
	s_mov_b32 s1, 0
	s_lshl_b64 s[4:5], s[0:1], 3
	v_lshlrev_b32_e32 v11, 3, v0
	s_waitcnt lgkmcnt(0)
	s_add_u32 s0, s8, s4
	s_addc_u32 s1, s9, s5
	v_mov_b32_e32 v1, s1
	v_add_co_u32_e32 v2, vcc, s0, v11
	v_addc_co_u32_e32 v1, vcc, 0, v1, vcc
	v_add_co_u32_e32 v7, vcc, 0x1000, v2
	v_addc_co_u32_e32 v8, vcc, 0, v1, vcc
	global_load_dwordx2 v[3:4], v11, s[0:1]
	global_load_dwordx2 v[5:6], v11, s[0:1] offset:2048
	global_load_dwordx2 v[1:2], v[7:8], off
	s_movk_i32 s0, 0xff
	v_cmp_ne_u32_e32 vcc, 0, v0
	v_cmp_ne_u32_e64 s[0:1], s0, v0
	v_add_u32_e32 v12, -8, v11
	s_movk_i32 s6, 0x64
	s_branch .LBB117_2
.LBB117_1:                              ;   in Loop: Header=BB117_2 Depth=1
	s_or_b64 exec, exec, s[2:3]
	v_cmp_eq_u64_e64 s[2:3], v[9:10], v[3:4]
	s_add_i32 s6, s6, -1
	v_cndmask_b32_e64 v9, 0, 1, s[2:3]
	v_cmp_eq_u64_e64 s[2:3], v[3:4], v[5:6]
	s_cmp_lg_u32 s6, 0
	v_cndmask_b32_e64 v10, 0, 1, s[2:3]
	v_add_co_u32_e64 v3, s[2:3], v3, v10
	v_addc_co_u32_e64 v4, s[2:3], 0, v4, s[2:3]
	v_add_co_u32_e64 v3, s[2:3], v3, v9
	v_addc_co_u32_e64 v4, s[2:3], 0, v4, s[2:3]
	;; [unrolled: 2-line block ×3, first 2 shown]
	v_cmp_eq_u64_e64 s[2:3], v[5:6], v[1:2]
	s_waitcnt lgkmcnt(0)
	v_cndmask_b32_e64 v13, 0, 1, s[2:3]
	v_add_co_u32_e64 v5, s[2:3], v9, v13
	v_addc_co_u32_e64 v6, s[2:3], 0, v10, s[2:3]
	v_add_co_u32_e64 v9, s[2:3], v1, v13
	v_addc_co_u32_e64 v10, s[2:3], 0, v2, s[2:3]
	v_cmp_eq_u64_e64 s[2:3], v[1:2], v[7:8]
	s_barrier
	v_cndmask_b32_e64 v1, 0, 1, s[2:3]
	v_add_co_u32_e64 v1, s[2:3], v9, v1
	v_addc_co_u32_e64 v2, s[2:3], 0, v10, s[2:3]
	s_cbranch_scc0 .LBB117_6
.LBB117_2:                              ; =>This Inner Loop Header: Depth=1
	v_mov_b32_e32 v9, 0x7b
	v_mov_b32_e32 v10, 0
	s_waitcnt vmcnt(0)
	ds_write_b64 v11, v[1:2]
	s_waitcnt lgkmcnt(0)
	s_barrier
	s_and_saveexec_b64 s[2:3], vcc
; %bb.3:                                ;   in Loop: Header=BB117_2 Depth=1
	ds_read_b64 v[9:10], v12
; %bb.4:                                ;   in Loop: Header=BB117_2 Depth=1
	s_or_b64 exec, exec, s[2:3]
	v_mov_b32_e32 v7, 0xea
	v_mov_b32_e32 v8, 0
	ds_write_b64 v11, v[3:4] offset:2048
	s_waitcnt lgkmcnt(0)
	s_barrier
	s_and_saveexec_b64 s[2:3], s[0:1]
	s_cbranch_execz .LBB117_1
; %bb.5:                                ;   in Loop: Header=BB117_2 Depth=1
	ds_read_b64 v[7:8], v11 offset:2056
	s_branch .LBB117_1
.LBB117_6:
	s_add_u32 s0, s10, s4
	s_addc_u32 s1, s11, s5
	v_lshlrev_b32_e32 v0, 3, v0
	v_mov_b32_e32 v7, s1
	v_add_co_u32_e32 v8, vcc, s0, v0
	v_addc_co_u32_e32 v7, vcc, 0, v7, vcc
	global_store_dwordx2 v0, v[3:4], s[0:1]
	global_store_dwordx2 v0, v[5:6], s[0:1] offset:2048
	v_add_co_u32_e32 v3, vcc, 0x1000, v8
	v_addc_co_u32_e32 v4, vcc, 0, v7, vcc
	global_store_dwordx2 v[3:4], v[1:2], off
	s_endpgm
	.section	.rodata,"a",@progbits
	.p2align	6, 0x0
	.amdhsa_kernel _Z6kernelI20flag_heads_and_tailsxLj256ELj3ELb1ELj100EEvPKT0_PS1_
		.amdhsa_group_segment_fixed_size 4096
		.amdhsa_private_segment_fixed_size 0
		.amdhsa_kernarg_size 16
		.amdhsa_user_sgpr_count 6
		.amdhsa_user_sgpr_private_segment_buffer 1
		.amdhsa_user_sgpr_dispatch_ptr 0
		.amdhsa_user_sgpr_queue_ptr 0
		.amdhsa_user_sgpr_kernarg_segment_ptr 1
		.amdhsa_user_sgpr_dispatch_id 0
		.amdhsa_user_sgpr_flat_scratch_init 0
		.amdhsa_user_sgpr_private_segment_size 0
		.amdhsa_uses_dynamic_stack 0
		.amdhsa_system_sgpr_private_segment_wavefront_offset 0
		.amdhsa_system_sgpr_workgroup_id_x 1
		.amdhsa_system_sgpr_workgroup_id_y 0
		.amdhsa_system_sgpr_workgroup_id_z 0
		.amdhsa_system_sgpr_workgroup_info 0
		.amdhsa_system_vgpr_workitem_id 0
		.amdhsa_next_free_vgpr 14
		.amdhsa_next_free_sgpr 12
		.amdhsa_reserve_vcc 1
		.amdhsa_reserve_flat_scratch 0
		.amdhsa_float_round_mode_32 0
		.amdhsa_float_round_mode_16_64 0
		.amdhsa_float_denorm_mode_32 3
		.amdhsa_float_denorm_mode_16_64 3
		.amdhsa_dx10_clamp 1
		.amdhsa_ieee_mode 1
		.amdhsa_fp16_overflow 0
		.amdhsa_exception_fp_ieee_invalid_op 0
		.amdhsa_exception_fp_denorm_src 0
		.amdhsa_exception_fp_ieee_div_zero 0
		.amdhsa_exception_fp_ieee_overflow 0
		.amdhsa_exception_fp_ieee_underflow 0
		.amdhsa_exception_fp_ieee_inexact 0
		.amdhsa_exception_int_div_zero 0
	.end_amdhsa_kernel
	.section	.text._Z6kernelI20flag_heads_and_tailsxLj256ELj3ELb1ELj100EEvPKT0_PS1_,"axG",@progbits,_Z6kernelI20flag_heads_and_tailsxLj256ELj3ELb1ELj100EEvPKT0_PS1_,comdat
.Lfunc_end117:
	.size	_Z6kernelI20flag_heads_and_tailsxLj256ELj3ELb1ELj100EEvPKT0_PS1_, .Lfunc_end117-_Z6kernelI20flag_heads_and_tailsxLj256ELj3ELb1ELj100EEvPKT0_PS1_
                                        ; -- End function
	.set _Z6kernelI20flag_heads_and_tailsxLj256ELj3ELb1ELj100EEvPKT0_PS1_.num_vgpr, 14
	.set _Z6kernelI20flag_heads_and_tailsxLj256ELj3ELb1ELj100EEvPKT0_PS1_.num_agpr, 0
	.set _Z6kernelI20flag_heads_and_tailsxLj256ELj3ELb1ELj100EEvPKT0_PS1_.numbered_sgpr, 12
	.set _Z6kernelI20flag_heads_and_tailsxLj256ELj3ELb1ELj100EEvPKT0_PS1_.num_named_barrier, 0
	.set _Z6kernelI20flag_heads_and_tailsxLj256ELj3ELb1ELj100EEvPKT0_PS1_.private_seg_size, 0
	.set _Z6kernelI20flag_heads_and_tailsxLj256ELj3ELb1ELj100EEvPKT0_PS1_.uses_vcc, 1
	.set _Z6kernelI20flag_heads_and_tailsxLj256ELj3ELb1ELj100EEvPKT0_PS1_.uses_flat_scratch, 0
	.set _Z6kernelI20flag_heads_and_tailsxLj256ELj3ELb1ELj100EEvPKT0_PS1_.has_dyn_sized_stack, 0
	.set _Z6kernelI20flag_heads_and_tailsxLj256ELj3ELb1ELj100EEvPKT0_PS1_.has_recursion, 0
	.set _Z6kernelI20flag_heads_and_tailsxLj256ELj3ELb1ELj100EEvPKT0_PS1_.has_indirect_call, 0
	.section	.AMDGPU.csdata,"",@progbits
; Kernel info:
; codeLenInByte = 460
; TotalNumSgprs: 16
; NumVgprs: 14
; ScratchSize: 0
; MemoryBound: 0
; FloatMode: 240
; IeeeMode: 1
; LDSByteSize: 4096 bytes/workgroup (compile time only)
; SGPRBlocks: 1
; VGPRBlocks: 3
; NumSGPRsForWavesPerEU: 16
; NumVGPRsForWavesPerEU: 14
; Occupancy: 10
; WaveLimiterHint : 1
; COMPUTE_PGM_RSRC2:SCRATCH_EN: 0
; COMPUTE_PGM_RSRC2:USER_SGPR: 6
; COMPUTE_PGM_RSRC2:TRAP_HANDLER: 0
; COMPUTE_PGM_RSRC2:TGID_X_EN: 1
; COMPUTE_PGM_RSRC2:TGID_Y_EN: 0
; COMPUTE_PGM_RSRC2:TGID_Z_EN: 0
; COMPUTE_PGM_RSRC2:TIDIG_COMP_CNT: 0
	.section	.text._Z6kernelI20flag_heads_and_tailsxLj256ELj4ELb1ELj100EEvPKT0_PS1_,"axG",@progbits,_Z6kernelI20flag_heads_and_tailsxLj256ELj4ELb1ELj100EEvPKT0_PS1_,comdat
	.protected	_Z6kernelI20flag_heads_and_tailsxLj256ELj4ELb1ELj100EEvPKT0_PS1_ ; -- Begin function _Z6kernelI20flag_heads_and_tailsxLj256ELj4ELb1ELj100EEvPKT0_PS1_
	.globl	_Z6kernelI20flag_heads_and_tailsxLj256ELj4ELb1ELj100EEvPKT0_PS1_
	.p2align	8
	.type	_Z6kernelI20flag_heads_and_tailsxLj256ELj4ELb1ELj100EEvPKT0_PS1_,@function
_Z6kernelI20flag_heads_and_tailsxLj256ELj4ELb1ELj100EEvPKT0_PS1_: ; @_Z6kernelI20flag_heads_and_tailsxLj256ELj4ELb1ELj100EEvPKT0_PS1_
; %bb.0:
	s_load_dwordx4 s[8:11], s[4:5], 0x0
	s_lshl_b32 s0, s6, 10
	s_mov_b32 s1, 0
	s_lshl_b64 s[4:5], s[0:1], 3
	v_lshlrev_b32_e32 v13, 3, v0
	s_waitcnt lgkmcnt(0)
	s_add_u32 s0, s8, s4
	s_addc_u32 s1, s9, s5
	v_mov_b32_e32 v1, s1
	v_add_co_u32_e32 v2, vcc, s0, v13
	v_addc_co_u32_e32 v1, vcc, 0, v1, vcc
	v_add_co_u32_e32 v9, vcc, 0x1000, v2
	v_addc_co_u32_e32 v10, vcc, 0, v1, vcc
	global_load_dwordx2 v[5:6], v13, s[0:1]
	global_load_dwordx2 v[7:8], v13, s[0:1] offset:2048
	global_load_dwordx2 v[1:2], v[9:10], off
	global_load_dwordx2 v[3:4], v[9:10], off offset:2048
	s_movk_i32 s0, 0xff
	v_cmp_ne_u32_e32 vcc, 0, v0
	v_cmp_ne_u32_e64 s[0:1], s0, v0
	v_add_u32_e32 v14, -8, v13
	s_movk_i32 s6, 0x64
	s_branch .LBB118_2
.LBB118_1:                              ;   in Loop: Header=BB118_2 Depth=1
	s_or_b64 exec, exec, s[2:3]
	v_cmp_eq_u64_e64 s[2:3], v[11:12], v[5:6]
	s_add_i32 s6, s6, -1
	v_cndmask_b32_e64 v11, 0, 1, s[2:3]
	v_cmp_eq_u64_e64 s[2:3], v[5:6], v[7:8]
	s_cmp_lg_u32 s6, 0
	v_cndmask_b32_e64 v12, 0, 1, s[2:3]
	v_add_co_u32_e64 v5, s[2:3], v5, v12
	v_addc_co_u32_e64 v6, s[2:3], 0, v6, s[2:3]
	v_add_co_u32_e64 v5, s[2:3], v5, v11
	v_addc_co_u32_e64 v6, s[2:3], 0, v6, s[2:3]
	;; [unrolled: 2-line block ×3, first 2 shown]
	v_cmp_eq_u64_e64 s[2:3], v[7:8], v[1:2]
	s_waitcnt lgkmcnt(0)
	v_cndmask_b32_e64 v15, 0, 1, s[2:3]
	v_add_co_u32_e64 v7, s[2:3], v11, v15
	v_addc_co_u32_e64 v8, s[2:3], 0, v12, s[2:3]
	v_add_co_u32_e64 v11, s[2:3], v1, v15
	v_addc_co_u32_e64 v12, s[2:3], 0, v2, s[2:3]
	v_cmp_eq_u64_e64 s[2:3], v[1:2], v[3:4]
	s_barrier
	v_cndmask_b32_e64 v15, 0, 1, s[2:3]
	v_add_co_u32_e64 v1, s[2:3], v11, v15
	v_addc_co_u32_e64 v2, s[2:3], 0, v12, s[2:3]
	v_add_co_u32_e64 v11, s[2:3], v3, v15
	v_addc_co_u32_e64 v12, s[2:3], 0, v4, s[2:3]
	v_cmp_eq_u64_e64 s[2:3], v[3:4], v[9:10]
	v_cndmask_b32_e64 v3, 0, 1, s[2:3]
	v_add_co_u32_e64 v3, s[2:3], v11, v3
	v_addc_co_u32_e64 v4, s[2:3], 0, v12, s[2:3]
	s_cbranch_scc0 .LBB118_6
.LBB118_2:                              ; =>This Inner Loop Header: Depth=1
	v_mov_b32_e32 v11, 0x7b
	v_mov_b32_e32 v12, 0
	s_waitcnt vmcnt(0)
	ds_write_b64 v13, v[3:4]
	s_waitcnt lgkmcnt(0)
	s_barrier
	s_and_saveexec_b64 s[2:3], vcc
; %bb.3:                                ;   in Loop: Header=BB118_2 Depth=1
	ds_read_b64 v[11:12], v14
; %bb.4:                                ;   in Loop: Header=BB118_2 Depth=1
	s_or_b64 exec, exec, s[2:3]
	v_mov_b32_e32 v9, 0xea
	v_mov_b32_e32 v10, 0
	ds_write_b64 v13, v[5:6] offset:2048
	s_waitcnt lgkmcnt(0)
	s_barrier
	s_and_saveexec_b64 s[2:3], s[0:1]
	s_cbranch_execz .LBB118_1
; %bb.5:                                ;   in Loop: Header=BB118_2 Depth=1
	ds_read_b64 v[9:10], v13 offset:2056
	s_branch .LBB118_1
.LBB118_6:
	s_add_u32 s0, s10, s4
	s_addc_u32 s1, s11, s5
	v_lshlrev_b32_e32 v0, 3, v0
	v_mov_b32_e32 v9, s1
	v_add_co_u32_e32 v10, vcc, s0, v0
	v_addc_co_u32_e32 v9, vcc, 0, v9, vcc
	global_store_dwordx2 v0, v[5:6], s[0:1]
	global_store_dwordx2 v0, v[7:8], s[0:1] offset:2048
	v_add_co_u32_e32 v5, vcc, 0x1000, v10
	v_addc_co_u32_e32 v6, vcc, 0, v9, vcc
	global_store_dwordx2 v[5:6], v[1:2], off
	global_store_dwordx2 v[5:6], v[3:4], off offset:2048
	s_endpgm
	.section	.rodata,"a",@progbits
	.p2align	6, 0x0
	.amdhsa_kernel _Z6kernelI20flag_heads_and_tailsxLj256ELj4ELb1ELj100EEvPKT0_PS1_
		.amdhsa_group_segment_fixed_size 4096
		.amdhsa_private_segment_fixed_size 0
		.amdhsa_kernarg_size 16
		.amdhsa_user_sgpr_count 6
		.amdhsa_user_sgpr_private_segment_buffer 1
		.amdhsa_user_sgpr_dispatch_ptr 0
		.amdhsa_user_sgpr_queue_ptr 0
		.amdhsa_user_sgpr_kernarg_segment_ptr 1
		.amdhsa_user_sgpr_dispatch_id 0
		.amdhsa_user_sgpr_flat_scratch_init 0
		.amdhsa_user_sgpr_private_segment_size 0
		.amdhsa_uses_dynamic_stack 0
		.amdhsa_system_sgpr_private_segment_wavefront_offset 0
		.amdhsa_system_sgpr_workgroup_id_x 1
		.amdhsa_system_sgpr_workgroup_id_y 0
		.amdhsa_system_sgpr_workgroup_id_z 0
		.amdhsa_system_sgpr_workgroup_info 0
		.amdhsa_system_vgpr_workitem_id 0
		.amdhsa_next_free_vgpr 16
		.amdhsa_next_free_sgpr 12
		.amdhsa_reserve_vcc 1
		.amdhsa_reserve_flat_scratch 0
		.amdhsa_float_round_mode_32 0
		.amdhsa_float_round_mode_16_64 0
		.amdhsa_float_denorm_mode_32 3
		.amdhsa_float_denorm_mode_16_64 3
		.amdhsa_dx10_clamp 1
		.amdhsa_ieee_mode 1
		.amdhsa_fp16_overflow 0
		.amdhsa_exception_fp_ieee_invalid_op 0
		.amdhsa_exception_fp_denorm_src 0
		.amdhsa_exception_fp_ieee_div_zero 0
		.amdhsa_exception_fp_ieee_overflow 0
		.amdhsa_exception_fp_ieee_underflow 0
		.amdhsa_exception_fp_ieee_inexact 0
		.amdhsa_exception_int_div_zero 0
	.end_amdhsa_kernel
	.section	.text._Z6kernelI20flag_heads_and_tailsxLj256ELj4ELb1ELj100EEvPKT0_PS1_,"axG",@progbits,_Z6kernelI20flag_heads_and_tailsxLj256ELj4ELb1ELj100EEvPKT0_PS1_,comdat
.Lfunc_end118:
	.size	_Z6kernelI20flag_heads_and_tailsxLj256ELj4ELb1ELj100EEvPKT0_PS1_, .Lfunc_end118-_Z6kernelI20flag_heads_and_tailsxLj256ELj4ELb1ELj100EEvPKT0_PS1_
                                        ; -- End function
	.set _Z6kernelI20flag_heads_and_tailsxLj256ELj4ELb1ELj100EEvPKT0_PS1_.num_vgpr, 16
	.set _Z6kernelI20flag_heads_and_tailsxLj256ELj4ELb1ELj100EEvPKT0_PS1_.num_agpr, 0
	.set _Z6kernelI20flag_heads_and_tailsxLj256ELj4ELb1ELj100EEvPKT0_PS1_.numbered_sgpr, 12
	.set _Z6kernelI20flag_heads_and_tailsxLj256ELj4ELb1ELj100EEvPKT0_PS1_.num_named_barrier, 0
	.set _Z6kernelI20flag_heads_and_tailsxLj256ELj4ELb1ELj100EEvPKT0_PS1_.private_seg_size, 0
	.set _Z6kernelI20flag_heads_and_tailsxLj256ELj4ELb1ELj100EEvPKT0_PS1_.uses_vcc, 1
	.set _Z6kernelI20flag_heads_and_tailsxLj256ELj4ELb1ELj100EEvPKT0_PS1_.uses_flat_scratch, 0
	.set _Z6kernelI20flag_heads_and_tailsxLj256ELj4ELb1ELj100EEvPKT0_PS1_.has_dyn_sized_stack, 0
	.set _Z6kernelI20flag_heads_and_tailsxLj256ELj4ELb1ELj100EEvPKT0_PS1_.has_recursion, 0
	.set _Z6kernelI20flag_heads_and_tailsxLj256ELj4ELb1ELj100EEvPKT0_PS1_.has_indirect_call, 0
	.section	.AMDGPU.csdata,"",@progbits
; Kernel info:
; codeLenInByte = 520
; TotalNumSgprs: 16
; NumVgprs: 16
; ScratchSize: 0
; MemoryBound: 0
; FloatMode: 240
; IeeeMode: 1
; LDSByteSize: 4096 bytes/workgroup (compile time only)
; SGPRBlocks: 1
; VGPRBlocks: 3
; NumSGPRsForWavesPerEU: 16
; NumVGPRsForWavesPerEU: 16
; Occupancy: 10
; WaveLimiterHint : 1
; COMPUTE_PGM_RSRC2:SCRATCH_EN: 0
; COMPUTE_PGM_RSRC2:USER_SGPR: 6
; COMPUTE_PGM_RSRC2:TRAP_HANDLER: 0
; COMPUTE_PGM_RSRC2:TGID_X_EN: 1
; COMPUTE_PGM_RSRC2:TGID_Y_EN: 0
; COMPUTE_PGM_RSRC2:TGID_Z_EN: 0
; COMPUTE_PGM_RSRC2:TIDIG_COMP_CNT: 0
	.section	.text._Z6kernelI20flag_heads_and_tailsxLj256ELj8ELb1ELj100EEvPKT0_PS1_,"axG",@progbits,_Z6kernelI20flag_heads_and_tailsxLj256ELj8ELb1ELj100EEvPKT0_PS1_,comdat
	.protected	_Z6kernelI20flag_heads_and_tailsxLj256ELj8ELb1ELj100EEvPKT0_PS1_ ; -- Begin function _Z6kernelI20flag_heads_and_tailsxLj256ELj8ELb1ELj100EEvPKT0_PS1_
	.globl	_Z6kernelI20flag_heads_and_tailsxLj256ELj8ELb1ELj100EEvPKT0_PS1_
	.p2align	8
	.type	_Z6kernelI20flag_heads_and_tailsxLj256ELj8ELb1ELj100EEvPKT0_PS1_,@function
_Z6kernelI20flag_heads_and_tailsxLj256ELj8ELb1ELj100EEvPKT0_PS1_: ; @_Z6kernelI20flag_heads_and_tailsxLj256ELj8ELb1ELj100EEvPKT0_PS1_
; %bb.0:
	s_load_dwordx4 s[8:11], s[4:5], 0x0
	s_lshl_b32 s0, s6, 11
	s_mov_b32 s1, 0
	s_lshl_b64 s[6:7], s[0:1], 3
	v_lshlrev_b32_e32 v21, 3, v0
	s_waitcnt lgkmcnt(0)
	s_add_u32 s0, s8, s6
	s_addc_u32 s1, s9, s7
	v_mov_b32_e32 v1, s1
	v_add_co_u32_e32 v2, vcc, s0, v21
	v_addc_co_u32_e32 v1, vcc, 0, v1, vcc
	s_movk_i32 s2, 0x1000
	v_add_co_u32_e32 v17, vcc, s2, v2
	v_addc_co_u32_e32 v18, vcc, 0, v1, vcc
	s_movk_i32 s2, 0x2000
	v_add_co_u32_e32 v19, vcc, s2, v2
	v_addc_co_u32_e32 v20, vcc, 0, v1, vcc
	v_add_co_u32_e32 v22, vcc, 0x3000, v2
	v_addc_co_u32_e32 v23, vcc, 0, v1, vcc
	global_load_dwordx2 v[13:14], v21, s[0:1]
	global_load_dwordx2 v[15:16], v21, s[0:1] offset:2048
	global_load_dwordx2 v[9:10], v[17:18], off offset:2048
	global_load_dwordx2 v[1:2], v[22:23], off
	global_load_dwordx2 v[11:12], v[19:20], off offset:-4096
	global_load_dwordx2 v[5:6], v[19:20], off
	global_load_dwordx2 v[7:8], v[19:20], off offset:2048
	global_load_dwordx2 v[3:4], v[22:23], off offset:2048
	s_movk_i32 s0, 0xff
	v_cmp_ne_u32_e32 vcc, 0, v0
	v_cmp_ne_u32_e64 s[0:1], s0, v0
	v_add_u32_e32 v22, -8, v21
	s_movk_i32 s8, 0x64
	s_branch .LBB119_2
.LBB119_1:                              ;   in Loop: Header=BB119_2 Depth=1
	s_or_b64 exec, exec, s[2:3]
	v_cmp_eq_u64_e64 s[4:5], v[13:14], v[15:16]
	v_cmp_eq_u64_e64 s[2:3], v[19:20], v[13:14]
	v_cndmask_b32_e64 v19, 0, 1, s[4:5]
	v_add_co_u32_e64 v13, s[4:5], v13, v19
	v_cndmask_b32_e64 v20, 0, 1, s[2:3]
	v_addc_co_u32_e64 v14, s[4:5], 0, v14, s[4:5]
	v_add_co_u32_e64 v13, s[2:3], v13, v20
	v_addc_co_u32_e64 v14, s[2:3], 0, v14, s[2:3]
	v_add_co_u32_e64 v19, s[2:3], v15, v19
	v_addc_co_u32_e64 v20, s[2:3], 0, v16, s[2:3]
	v_cmp_eq_u64_e64 s[2:3], v[15:16], v[11:12]
	s_add_i32 s8, s8, -1
	v_cndmask_b32_e64 v23, 0, 1, s[2:3]
	v_add_co_u32_e64 v15, s[2:3], v19, v23
	v_addc_co_u32_e64 v16, s[2:3], 0, v20, s[2:3]
	v_add_co_u32_e64 v19, s[2:3], v11, v23
	v_addc_co_u32_e64 v20, s[2:3], 0, v12, s[2:3]
	v_cmp_eq_u64_e64 s[2:3], v[11:12], v[9:10]
	s_cmp_lg_u32 s8, 0
	v_cndmask_b32_e64 v23, 0, 1, s[2:3]
	v_add_co_u32_e64 v11, s[2:3], v19, v23
	v_addc_co_u32_e64 v12, s[2:3], 0, v20, s[2:3]
	v_add_co_u32_e64 v19, s[2:3], v9, v23
	v_addc_co_u32_e64 v20, s[2:3], 0, v10, s[2:3]
	v_cmp_eq_u64_e64 s[2:3], v[9:10], v[5:6]
	s_waitcnt lgkmcnt(0)
	v_cndmask_b32_e64 v23, 0, 1, s[2:3]
	v_add_co_u32_e64 v9, s[2:3], v19, v23
	v_addc_co_u32_e64 v10, s[2:3], 0, v20, s[2:3]
	v_add_co_u32_e64 v19, s[2:3], v5, v23
	v_addc_co_u32_e64 v20, s[2:3], 0, v6, s[2:3]
	v_cmp_eq_u64_e64 s[2:3], v[5:6], v[7:8]
	s_barrier
	v_cndmask_b32_e64 v23, 0, 1, s[2:3]
	v_add_co_u32_e64 v5, s[2:3], v19, v23
	v_addc_co_u32_e64 v6, s[2:3], 0, v20, s[2:3]
	v_add_co_u32_e64 v19, s[2:3], v7, v23
	v_addc_co_u32_e64 v20, s[2:3], 0, v8, s[2:3]
	v_cmp_eq_u64_e64 s[2:3], v[7:8], v[1:2]
	v_cndmask_b32_e64 v23, 0, 1, s[2:3]
	v_add_co_u32_e64 v7, s[2:3], v19, v23
	v_addc_co_u32_e64 v8, s[2:3], 0, v20, s[2:3]
	v_add_co_u32_e64 v19, s[2:3], v1, v23
	v_addc_co_u32_e64 v20, s[2:3], 0, v2, s[2:3]
	v_cmp_eq_u64_e64 s[2:3], v[1:2], v[3:4]
	;; [unrolled: 6-line block ×3, first 2 shown]
	v_cndmask_b32_e64 v3, 0, 1, s[2:3]
	v_add_co_u32_e64 v3, s[2:3], v19, v3
	v_addc_co_u32_e64 v4, s[2:3], 0, v20, s[2:3]
	s_cbranch_scc0 .LBB119_6
.LBB119_2:                              ; =>This Inner Loop Header: Depth=1
	v_mov_b32_e32 v19, 0x7b
	v_mov_b32_e32 v20, 0
	s_waitcnt vmcnt(0)
	ds_write_b64 v21, v[3:4]
	s_waitcnt lgkmcnt(0)
	s_barrier
	s_and_saveexec_b64 s[2:3], vcc
; %bb.3:                                ;   in Loop: Header=BB119_2 Depth=1
	ds_read_b64 v[19:20], v22
; %bb.4:                                ;   in Loop: Header=BB119_2 Depth=1
	s_or_b64 exec, exec, s[2:3]
	v_mov_b32_e32 v17, 0xea
	v_mov_b32_e32 v18, 0
	ds_write_b64 v21, v[13:14] offset:2048
	s_waitcnt lgkmcnt(0)
	s_barrier
	s_and_saveexec_b64 s[2:3], s[0:1]
	s_cbranch_execz .LBB119_1
; %bb.5:                                ;   in Loop: Header=BB119_2 Depth=1
	ds_read_b64 v[17:18], v21 offset:2056
	s_branch .LBB119_1
.LBB119_6:
	s_add_u32 s0, s10, s6
	s_addc_u32 s1, s11, s7
	v_lshlrev_b32_e32 v0, 3, v0
	v_mov_b32_e32 v17, s1
	v_add_co_u32_e32 v18, vcc, s0, v0
	v_addc_co_u32_e32 v17, vcc, 0, v17, vcc
	global_store_dwordx2 v0, v[13:14], s[0:1]
	global_store_dwordx2 v0, v[15:16], s[0:1] offset:2048
	v_add_co_u32_e32 v13, vcc, 0x1000, v18
	v_addc_co_u32_e32 v14, vcc, 0, v17, vcc
	global_store_dwordx2 v[13:14], v[11:12], off
	global_store_dwordx2 v[13:14], v[9:10], off offset:2048
	v_add_co_u32_e32 v9, vcc, 0x2000, v18
	v_addc_co_u32_e32 v10, vcc, 0, v17, vcc
	global_store_dwordx2 v[9:10], v[5:6], off
	global_store_dwordx2 v[9:10], v[7:8], off offset:2048
	;; [unrolled: 4-line block ×3, first 2 shown]
	s_endpgm
	.section	.rodata,"a",@progbits
	.p2align	6, 0x0
	.amdhsa_kernel _Z6kernelI20flag_heads_and_tailsxLj256ELj8ELb1ELj100EEvPKT0_PS1_
		.amdhsa_group_segment_fixed_size 4096
		.amdhsa_private_segment_fixed_size 0
		.amdhsa_kernarg_size 16
		.amdhsa_user_sgpr_count 6
		.amdhsa_user_sgpr_private_segment_buffer 1
		.amdhsa_user_sgpr_dispatch_ptr 0
		.amdhsa_user_sgpr_queue_ptr 0
		.amdhsa_user_sgpr_kernarg_segment_ptr 1
		.amdhsa_user_sgpr_dispatch_id 0
		.amdhsa_user_sgpr_flat_scratch_init 0
		.amdhsa_user_sgpr_private_segment_size 0
		.amdhsa_uses_dynamic_stack 0
		.amdhsa_system_sgpr_private_segment_wavefront_offset 0
		.amdhsa_system_sgpr_workgroup_id_x 1
		.amdhsa_system_sgpr_workgroup_id_y 0
		.amdhsa_system_sgpr_workgroup_id_z 0
		.amdhsa_system_sgpr_workgroup_info 0
		.amdhsa_system_vgpr_workitem_id 0
		.amdhsa_next_free_vgpr 24
		.amdhsa_next_free_sgpr 12
		.amdhsa_reserve_vcc 1
		.amdhsa_reserve_flat_scratch 0
		.amdhsa_float_round_mode_32 0
		.amdhsa_float_round_mode_16_64 0
		.amdhsa_float_denorm_mode_32 3
		.amdhsa_float_denorm_mode_16_64 3
		.amdhsa_dx10_clamp 1
		.amdhsa_ieee_mode 1
		.amdhsa_fp16_overflow 0
		.amdhsa_exception_fp_ieee_invalid_op 0
		.amdhsa_exception_fp_denorm_src 0
		.amdhsa_exception_fp_ieee_div_zero 0
		.amdhsa_exception_fp_ieee_overflow 0
		.amdhsa_exception_fp_ieee_underflow 0
		.amdhsa_exception_fp_ieee_inexact 0
		.amdhsa_exception_int_div_zero 0
	.end_amdhsa_kernel
	.section	.text._Z6kernelI20flag_heads_and_tailsxLj256ELj8ELb1ELj100EEvPKT0_PS1_,"axG",@progbits,_Z6kernelI20flag_heads_and_tailsxLj256ELj8ELb1ELj100EEvPKT0_PS1_,comdat
.Lfunc_end119:
	.size	_Z6kernelI20flag_heads_and_tailsxLj256ELj8ELb1ELj100EEvPKT0_PS1_, .Lfunc_end119-_Z6kernelI20flag_heads_and_tailsxLj256ELj8ELb1ELj100EEvPKT0_PS1_
                                        ; -- End function
	.set _Z6kernelI20flag_heads_and_tailsxLj256ELj8ELb1ELj100EEvPKT0_PS1_.num_vgpr, 24
	.set _Z6kernelI20flag_heads_and_tailsxLj256ELj8ELb1ELj100EEvPKT0_PS1_.num_agpr, 0
	.set _Z6kernelI20flag_heads_and_tailsxLj256ELj8ELb1ELj100EEvPKT0_PS1_.numbered_sgpr, 12
	.set _Z6kernelI20flag_heads_and_tailsxLj256ELj8ELb1ELj100EEvPKT0_PS1_.num_named_barrier, 0
	.set _Z6kernelI20flag_heads_and_tailsxLj256ELj8ELb1ELj100EEvPKT0_PS1_.private_seg_size, 0
	.set _Z6kernelI20flag_heads_and_tailsxLj256ELj8ELb1ELj100EEvPKT0_PS1_.uses_vcc, 1
	.set _Z6kernelI20flag_heads_and_tailsxLj256ELj8ELb1ELj100EEvPKT0_PS1_.uses_flat_scratch, 0
	.set _Z6kernelI20flag_heads_and_tailsxLj256ELj8ELb1ELj100EEvPKT0_PS1_.has_dyn_sized_stack, 0
	.set _Z6kernelI20flag_heads_and_tailsxLj256ELj8ELb1ELj100EEvPKT0_PS1_.has_recursion, 0
	.set _Z6kernelI20flag_heads_and_tailsxLj256ELj8ELb1ELj100EEvPKT0_PS1_.has_indirect_call, 0
	.section	.AMDGPU.csdata,"",@progbits
; Kernel info:
; codeLenInByte = 824
; TotalNumSgprs: 16
; NumVgprs: 24
; ScratchSize: 0
; MemoryBound: 0
; FloatMode: 240
; IeeeMode: 1
; LDSByteSize: 4096 bytes/workgroup (compile time only)
; SGPRBlocks: 1
; VGPRBlocks: 5
; NumSGPRsForWavesPerEU: 16
; NumVGPRsForWavesPerEU: 24
; Occupancy: 10
; WaveLimiterHint : 1
; COMPUTE_PGM_RSRC2:SCRATCH_EN: 0
; COMPUTE_PGM_RSRC2:USER_SGPR: 6
; COMPUTE_PGM_RSRC2:TRAP_HANDLER: 0
; COMPUTE_PGM_RSRC2:TGID_X_EN: 1
; COMPUTE_PGM_RSRC2:TGID_Y_EN: 0
; COMPUTE_PGM_RSRC2:TGID_Z_EN: 0
; COMPUTE_PGM_RSRC2:TIDIG_COMP_CNT: 0
	.section	.AMDGPU.gpr_maximums,"",@progbits
	.set amdgpu.max_num_vgpr, 0
	.set amdgpu.max_num_agpr, 0
	.set amdgpu.max_num_sgpr, 0
	.section	.AMDGPU.csdata,"",@progbits
	.type	__hip_cuid_368dd3eeeaa8fffe,@object ; @__hip_cuid_368dd3eeeaa8fffe
	.section	.bss,"aw",@nobits
	.globl	__hip_cuid_368dd3eeeaa8fffe
__hip_cuid_368dd3eeeaa8fffe:
	.byte	0                               ; 0x0
	.size	__hip_cuid_368dd3eeeaa8fffe, 1

	.ident	"AMD clang version 22.0.0git (https://github.com/RadeonOpenCompute/llvm-project roc-7.2.4 26084 f58b06dce1f9c15707c5f808fd002e18c2accf7e)"
	.section	".note.GNU-stack","",@progbits
	.addrsig
	.addrsig_sym __hip_cuid_368dd3eeeaa8fffe
	.amdgpu_metadata
---
amdhsa.kernels:
  - .args:
      - .address_space:  global
        .offset:         0
        .size:           8
        .value_kind:     global_buffer
      - .address_space:  global
        .offset:         8
        .size:           8
        .value_kind:     global_buffer
    .group_segment_fixed_size: 2048
    .kernarg_segment_align: 8
    .kernarg_segment_size: 16
    .language:       OpenCL C
    .language_version:
      - 2
      - 0
    .max_flat_workgroup_size: 256
    .name:           _Z6kernelI10flag_headsiLj256ELj1ELb0ELj100EEvPKT0_PS1_
    .private_segment_fixed_size: 0
    .sgpr_count:     13
    .sgpr_spill_count: 0
    .symbol:         _Z6kernelI10flag_headsiLj256ELj1ELb0ELj100EEvPKT0_PS1_.kd
    .uniform_work_group_size: 1
    .uses_dynamic_stack: false
    .vgpr_count:     5
    .vgpr_spill_count: 0
    .wavefront_size: 64
  - .args:
      - .address_space:  global
        .offset:         0
        .size:           8
        .value_kind:     global_buffer
      - .address_space:  global
        .offset:         8
        .size:           8
        .value_kind:     global_buffer
    .group_segment_fixed_size: 2048
    .kernarg_segment_align: 8
    .kernarg_segment_size: 16
    .language:       OpenCL C
    .language_version:
      - 2
      - 0
    .max_flat_workgroup_size: 256
    .name:           _Z6kernelI10flag_headsiLj256ELj2ELb0ELj100EEvPKT0_PS1_
    .private_segment_fixed_size: 0
    .sgpr_count:     16
    .sgpr_spill_count: 0
    .symbol:         _Z6kernelI10flag_headsiLj256ELj2ELb0ELj100EEvPKT0_PS1_.kd
    .uniform_work_group_size: 1
    .uses_dynamic_stack: false
    .vgpr_count:     7
    .vgpr_spill_count: 0
    .wavefront_size: 64
  - .args:
      - .address_space:  global
        .offset:         0
        .size:           8
        .value_kind:     global_buffer
      - .address_space:  global
        .offset:         8
        .size:           8
        .value_kind:     global_buffer
    .group_segment_fixed_size: 2048
    .kernarg_segment_align: 8
    .kernarg_segment_size: 16
    .language:       OpenCL C
    .language_version:
      - 2
      - 0
    .max_flat_workgroup_size: 256
    .name:           _Z6kernelI10flag_headsiLj256ELj3ELb0ELj100EEvPKT0_PS1_
    .private_segment_fixed_size: 0
    .sgpr_count:     17
    .sgpr_spill_count: 0
    .symbol:         _Z6kernelI10flag_headsiLj256ELj3ELb0ELj100EEvPKT0_PS1_.kd
    .uniform_work_group_size: 1
    .uses_dynamic_stack: false
    .vgpr_count:     9
    .vgpr_spill_count: 0
    .wavefront_size: 64
  - .args:
      - .address_space:  global
        .offset:         0
        .size:           8
        .value_kind:     global_buffer
      - .address_space:  global
        .offset:         8
        .size:           8
        .value_kind:     global_buffer
    .group_segment_fixed_size: 2048
    .kernarg_segment_align: 8
    .kernarg_segment_size: 16
    .language:       OpenCL C
    .language_version:
      - 2
      - 0
    .max_flat_workgroup_size: 256
    .name:           _Z6kernelI10flag_headsiLj256ELj4ELb0ELj100EEvPKT0_PS1_
    .private_segment_fixed_size: 0
    .sgpr_count:     19
    .sgpr_spill_count: 0
    .symbol:         _Z6kernelI10flag_headsiLj256ELj4ELb0ELj100EEvPKT0_PS1_.kd
    .uniform_work_group_size: 1
    .uses_dynamic_stack: false
    .vgpr_count:     11
    .vgpr_spill_count: 0
    .wavefront_size: 64
  - .args:
      - .address_space:  global
        .offset:         0
        .size:           8
        .value_kind:     global_buffer
      - .address_space:  global
        .offset:         8
        .size:           8
        .value_kind:     global_buffer
    .group_segment_fixed_size: 2048
    .kernarg_segment_align: 8
    .kernarg_segment_size: 16
    .language:       OpenCL C
    .language_version:
      - 2
      - 0
    .max_flat_workgroup_size: 256
    .name:           _Z6kernelI10flag_headsiLj256ELj8ELb0ELj100EEvPKT0_PS1_
    .private_segment_fixed_size: 0
    .sgpr_count:     23
    .sgpr_spill_count: 0
    .symbol:         _Z6kernelI10flag_headsiLj256ELj8ELb0ELj100EEvPKT0_PS1_.kd
    .uniform_work_group_size: 1
    .uses_dynamic_stack: false
    .vgpr_count:     12
    .vgpr_spill_count: 0
    .wavefront_size: 64
  - .args:
      - .address_space:  global
        .offset:         0
        .size:           8
        .value_kind:     global_buffer
      - .address_space:  global
        .offset:         8
        .size:           8
        .value_kind:     global_buffer
    .group_segment_fixed_size: 2048
    .kernarg_segment_align: 8
    .kernarg_segment_size: 16
    .language:       OpenCL C
    .language_version:
      - 2
      - 0
    .max_flat_workgroup_size: 256
    .name:           _Z6kernelI10flag_headsiLj256ELj1ELb1ELj100EEvPKT0_PS1_
    .private_segment_fixed_size: 0
    .sgpr_count:     11
    .sgpr_spill_count: 0
    .symbol:         _Z6kernelI10flag_headsiLj256ELj1ELb1ELj100EEvPKT0_PS1_.kd
    .uniform_work_group_size: 1
    .uses_dynamic_stack: false
    .vgpr_count:     5
    .vgpr_spill_count: 0
    .wavefront_size: 64
  - .args:
      - .address_space:  global
        .offset:         0
        .size:           8
        .value_kind:     global_buffer
      - .address_space:  global
        .offset:         8
        .size:           8
        .value_kind:     global_buffer
    .group_segment_fixed_size: 2048
    .kernarg_segment_align: 8
    .kernarg_segment_size: 16
    .language:       OpenCL C
    .language_version:
      - 2
      - 0
    .max_flat_workgroup_size: 256
    .name:           _Z6kernelI10flag_headsiLj256ELj2ELb1ELj100EEvPKT0_PS1_
    .private_segment_fixed_size: 0
    .sgpr_count:     16
    .sgpr_spill_count: 0
    .symbol:         _Z6kernelI10flag_headsiLj256ELj2ELb1ELj100EEvPKT0_PS1_.kd
    .uniform_work_group_size: 1
    .uses_dynamic_stack: false
    .vgpr_count:     6
    .vgpr_spill_count: 0
    .wavefront_size: 64
  - .args:
      - .address_space:  global
        .offset:         0
        .size:           8
        .value_kind:     global_buffer
      - .address_space:  global
        .offset:         8
        .size:           8
        .value_kind:     global_buffer
    .group_segment_fixed_size: 2048
    .kernarg_segment_align: 8
    .kernarg_segment_size: 16
    .language:       OpenCL C
    .language_version:
      - 2
      - 0
    .max_flat_workgroup_size: 256
    .name:           _Z6kernelI10flag_headsiLj256ELj3ELb1ELj100EEvPKT0_PS1_
    .private_segment_fixed_size: 0
    .sgpr_count:     16
    .sgpr_spill_count: 0
    .symbol:         _Z6kernelI10flag_headsiLj256ELj3ELb1ELj100EEvPKT0_PS1_.kd
    .uniform_work_group_size: 1
    .uses_dynamic_stack: false
    .vgpr_count:     7
    .vgpr_spill_count: 0
    .wavefront_size: 64
  - .args:
      - .address_space:  global
        .offset:         0
        .size:           8
        .value_kind:     global_buffer
      - .address_space:  global
        .offset:         8
        .size:           8
        .value_kind:     global_buffer
    .group_segment_fixed_size: 2048
    .kernarg_segment_align: 8
    .kernarg_segment_size: 16
    .language:       OpenCL C
    .language_version:
      - 2
      - 0
    .max_flat_workgroup_size: 256
    .name:           _Z6kernelI10flag_headsiLj256ELj4ELb1ELj100EEvPKT0_PS1_
    .private_segment_fixed_size: 0
    .sgpr_count:     18
    .sgpr_spill_count: 0
    .symbol:         _Z6kernelI10flag_headsiLj256ELj4ELb1ELj100EEvPKT0_PS1_.kd
    .uniform_work_group_size: 1
    .uses_dynamic_stack: false
    .vgpr_count:     8
    .vgpr_spill_count: 0
    .wavefront_size: 64
  - .args:
      - .address_space:  global
        .offset:         0
        .size:           8
        .value_kind:     global_buffer
      - .address_space:  global
        .offset:         8
        .size:           8
        .value_kind:     global_buffer
    .group_segment_fixed_size: 2048
    .kernarg_segment_align: 8
    .kernarg_segment_size: 16
    .language:       OpenCL C
    .language_version:
      - 2
      - 0
    .max_flat_workgroup_size: 256
    .name:           _Z6kernelI10flag_headsiLj256ELj8ELb1ELj100EEvPKT0_PS1_
    .private_segment_fixed_size: 0
    .sgpr_count:     26
    .sgpr_spill_count: 0
    .symbol:         _Z6kernelI10flag_headsiLj256ELj8ELb1ELj100EEvPKT0_PS1_.kd
    .uniform_work_group_size: 1
    .uses_dynamic_stack: false
    .vgpr_count:     12
    .vgpr_spill_count: 0
    .wavefront_size: 64
  - .args:
      - .address_space:  global
        .offset:         0
        .size:           8
        .value_kind:     global_buffer
      - .address_space:  global
        .offset:         8
        .size:           8
        .value_kind:     global_buffer
    .group_segment_fixed_size: 512
    .kernarg_segment_align: 8
    .kernarg_segment_size: 16
    .language:       OpenCL C
    .language_version:
      - 2
      - 0
    .max_flat_workgroup_size: 256
    .name:           _Z6kernelI10flag_headsaLj256ELj1ELb0ELj100EEvPKT0_PS1_
    .private_segment_fixed_size: 0
    .sgpr_count:     12
    .sgpr_spill_count: 0
    .symbol:         _Z6kernelI10flag_headsaLj256ELj1ELb0ELj100EEvPKT0_PS1_.kd
    .uniform_work_group_size: 1
    .uses_dynamic_stack: false
    .vgpr_count:     4
    .vgpr_spill_count: 0
    .wavefront_size: 64
  - .args:
      - .address_space:  global
        .offset:         0
        .size:           8
        .value_kind:     global_buffer
      - .address_space:  global
        .offset:         8
        .size:           8
        .value_kind:     global_buffer
    .group_segment_fixed_size: 512
    .kernarg_segment_align: 8
    .kernarg_segment_size: 16
    .language:       OpenCL C
    .language_version:
      - 2
      - 0
    .max_flat_workgroup_size: 256
    .name:           _Z6kernelI10flag_headsaLj256ELj2ELb0ELj100EEvPKT0_PS1_
    .private_segment_fixed_size: 0
    .sgpr_count:     14
    .sgpr_spill_count: 0
    .symbol:         _Z6kernelI10flag_headsaLj256ELj2ELb0ELj100EEvPKT0_PS1_.kd
    .uniform_work_group_size: 1
    .uses_dynamic_stack: false
    .vgpr_count:     6
    .vgpr_spill_count: 0
    .wavefront_size: 64
  - .args:
      - .address_space:  global
        .offset:         0
        .size:           8
        .value_kind:     global_buffer
      - .address_space:  global
        .offset:         8
        .size:           8
        .value_kind:     global_buffer
    .group_segment_fixed_size: 512
    .kernarg_segment_align: 8
    .kernarg_segment_size: 16
    .language:       OpenCL C
    .language_version:
      - 2
      - 0
    .max_flat_workgroup_size: 256
    .name:           _Z6kernelI10flag_headsaLj256ELj3ELb0ELj100EEvPKT0_PS1_
    .private_segment_fixed_size: 0
    .sgpr_count:     18
    .sgpr_spill_count: 0
    .symbol:         _Z6kernelI10flag_headsaLj256ELj3ELb0ELj100EEvPKT0_PS1_.kd
    .uniform_work_group_size: 1
    .uses_dynamic_stack: false
    .vgpr_count:     7
    .vgpr_spill_count: 0
    .wavefront_size: 64
  - .args:
      - .address_space:  global
        .offset:         0
        .size:           8
        .value_kind:     global_buffer
      - .address_space:  global
        .offset:         8
        .size:           8
        .value_kind:     global_buffer
    .group_segment_fixed_size: 512
    .kernarg_segment_align: 8
    .kernarg_segment_size: 16
    .language:       OpenCL C
    .language_version:
      - 2
      - 0
    .max_flat_workgroup_size: 256
    .name:           _Z6kernelI10flag_headsaLj256ELj4ELb0ELj100EEvPKT0_PS1_
    .private_segment_fixed_size: 0
    .sgpr_count:     20
    .sgpr_spill_count: 0
    .symbol:         _Z6kernelI10flag_headsaLj256ELj4ELb0ELj100EEvPKT0_PS1_.kd
    .uniform_work_group_size: 1
    .uses_dynamic_stack: false
    .vgpr_count:     8
    .vgpr_spill_count: 0
    .wavefront_size: 64
  - .args:
      - .address_space:  global
        .offset:         0
        .size:           8
        .value_kind:     global_buffer
      - .address_space:  global
        .offset:         8
        .size:           8
        .value_kind:     global_buffer
    .group_segment_fixed_size: 512
    .kernarg_segment_align: 8
    .kernarg_segment_size: 16
    .language:       OpenCL C
    .language_version:
      - 2
      - 0
    .max_flat_workgroup_size: 256
    .name:           _Z6kernelI10flag_headsaLj256ELj8ELb0ELj100EEvPKT0_PS1_
    .private_segment_fixed_size: 0
    .sgpr_count:     14
    .sgpr_spill_count: 0
    .symbol:         _Z6kernelI10flag_headsaLj256ELj8ELb0ELj100EEvPKT0_PS1_.kd
    .uniform_work_group_size: 1
    .uses_dynamic_stack: false
    .vgpr_count:     16
    .vgpr_spill_count: 0
    .wavefront_size: 64
  - .args:
      - .address_space:  global
        .offset:         0
        .size:           8
        .value_kind:     global_buffer
      - .address_space:  global
        .offset:         8
        .size:           8
        .value_kind:     global_buffer
    .group_segment_fixed_size: 512
    .kernarg_segment_align: 8
    .kernarg_segment_size: 16
    .language:       OpenCL C
    .language_version:
      - 2
      - 0
    .max_flat_workgroup_size: 256
    .name:           _Z6kernelI10flag_headsaLj256ELj1ELb1ELj100EEvPKT0_PS1_
    .private_segment_fixed_size: 0
    .sgpr_count:     11
    .sgpr_spill_count: 0
    .symbol:         _Z6kernelI10flag_headsaLj256ELj1ELb1ELj100EEvPKT0_PS1_.kd
    .uniform_work_group_size: 1
    .uses_dynamic_stack: false
    .vgpr_count:     4
    .vgpr_spill_count: 0
    .wavefront_size: 64
  - .args:
      - .address_space:  global
        .offset:         0
        .size:           8
        .value_kind:     global_buffer
      - .address_space:  global
        .offset:         8
        .size:           8
        .value_kind:     global_buffer
    .group_segment_fixed_size: 512
    .kernarg_segment_align: 8
    .kernarg_segment_size: 16
    .language:       OpenCL C
    .language_version:
      - 2
      - 0
    .max_flat_workgroup_size: 256
    .name:           _Z6kernelI10flag_headsaLj256ELj2ELb1ELj100EEvPKT0_PS1_
    .private_segment_fixed_size: 0
    .sgpr_count:     11
    .sgpr_spill_count: 0
    .symbol:         _Z6kernelI10flag_headsaLj256ELj2ELb1ELj100EEvPKT0_PS1_.kd
    .uniform_work_group_size: 1
    .uses_dynamic_stack: false
    .vgpr_count:     6
    .vgpr_spill_count: 0
    .wavefront_size: 64
  - .args:
      - .address_space:  global
        .offset:         0
        .size:           8
        .value_kind:     global_buffer
      - .address_space:  global
        .offset:         8
        .size:           8
        .value_kind:     global_buffer
    .group_segment_fixed_size: 512
    .kernarg_segment_align: 8
    .kernarg_segment_size: 16
    .language:       OpenCL C
    .language_version:
      - 2
      - 0
    .max_flat_workgroup_size: 256
    .name:           _Z6kernelI10flag_headsaLj256ELj3ELb1ELj100EEvPKT0_PS1_
    .private_segment_fixed_size: 0
    .sgpr_count:     11
    .sgpr_spill_count: 0
    .symbol:         _Z6kernelI10flag_headsaLj256ELj3ELb1ELj100EEvPKT0_PS1_.kd
    .uniform_work_group_size: 1
    .uses_dynamic_stack: false
    .vgpr_count:     8
    .vgpr_spill_count: 0
    .wavefront_size: 64
  - .args:
      - .address_space:  global
        .offset:         0
        .size:           8
        .value_kind:     global_buffer
      - .address_space:  global
        .offset:         8
        .size:           8
        .value_kind:     global_buffer
    .group_segment_fixed_size: 512
    .kernarg_segment_align: 8
    .kernarg_segment_size: 16
    .language:       OpenCL C
    .language_version:
      - 2
      - 0
    .max_flat_workgroup_size: 256
    .name:           _Z6kernelI10flag_headsaLj256ELj4ELb1ELj100EEvPKT0_PS1_
    .private_segment_fixed_size: 0
    .sgpr_count:     11
    .sgpr_spill_count: 0
    .symbol:         _Z6kernelI10flag_headsaLj256ELj4ELb1ELj100EEvPKT0_PS1_.kd
    .uniform_work_group_size: 1
    .uses_dynamic_stack: false
    .vgpr_count:     9
    .vgpr_spill_count: 0
    .wavefront_size: 64
  - .args:
      - .address_space:  global
        .offset:         0
        .size:           8
        .value_kind:     global_buffer
      - .address_space:  global
        .offset:         8
        .size:           8
        .value_kind:     global_buffer
    .group_segment_fixed_size: 512
    .kernarg_segment_align: 8
    .kernarg_segment_size: 16
    .language:       OpenCL C
    .language_version:
      - 2
      - 0
    .max_flat_workgroup_size: 256
    .name:           _Z6kernelI10flag_headsaLj256ELj8ELb1ELj100EEvPKT0_PS1_
    .private_segment_fixed_size: 0
    .sgpr_count:     11
    .sgpr_spill_count: 0
    .symbol:         _Z6kernelI10flag_headsaLj256ELj8ELb1ELj100EEvPKT0_PS1_.kd
    .uniform_work_group_size: 1
    .uses_dynamic_stack: false
    .vgpr_count:     16
    .vgpr_spill_count: 0
    .wavefront_size: 64
  - .args:
      - .address_space:  global
        .offset:         0
        .size:           8
        .value_kind:     global_buffer
      - .address_space:  global
        .offset:         8
        .size:           8
        .value_kind:     global_buffer
    .group_segment_fixed_size: 512
    .kernarg_segment_align: 8
    .kernarg_segment_size: 16
    .language:       OpenCL C
    .language_version:
      - 2
      - 0
    .max_flat_workgroup_size: 256
    .name:           _Z6kernelI10flag_headshLj256ELj1ELb0ELj100EEvPKT0_PS1_
    .private_segment_fixed_size: 0
    .sgpr_count:     12
    .sgpr_spill_count: 0
    .symbol:         _Z6kernelI10flag_headshLj256ELj1ELb0ELj100EEvPKT0_PS1_.kd
    .uniform_work_group_size: 1
    .uses_dynamic_stack: false
    .vgpr_count:     4
    .vgpr_spill_count: 0
    .wavefront_size: 64
  - .args:
      - .address_space:  global
        .offset:         0
        .size:           8
        .value_kind:     global_buffer
      - .address_space:  global
        .offset:         8
        .size:           8
        .value_kind:     global_buffer
    .group_segment_fixed_size: 512
    .kernarg_segment_align: 8
    .kernarg_segment_size: 16
    .language:       OpenCL C
    .language_version:
      - 2
      - 0
    .max_flat_workgroup_size: 256
    .name:           _Z6kernelI10flag_headshLj256ELj2ELb0ELj100EEvPKT0_PS1_
    .private_segment_fixed_size: 0
    .sgpr_count:     14
    .sgpr_spill_count: 0
    .symbol:         _Z6kernelI10flag_headshLj256ELj2ELb0ELj100EEvPKT0_PS1_.kd
    .uniform_work_group_size: 1
    .uses_dynamic_stack: false
    .vgpr_count:     6
    .vgpr_spill_count: 0
    .wavefront_size: 64
  - .args:
      - .address_space:  global
        .offset:         0
        .size:           8
        .value_kind:     global_buffer
      - .address_space:  global
        .offset:         8
        .size:           8
        .value_kind:     global_buffer
    .group_segment_fixed_size: 512
    .kernarg_segment_align: 8
    .kernarg_segment_size: 16
    .language:       OpenCL C
    .language_version:
      - 2
      - 0
    .max_flat_workgroup_size: 256
    .name:           _Z6kernelI10flag_headshLj256ELj3ELb0ELj100EEvPKT0_PS1_
    .private_segment_fixed_size: 0
    .sgpr_count:     18
    .sgpr_spill_count: 0
    .symbol:         _Z6kernelI10flag_headshLj256ELj3ELb0ELj100EEvPKT0_PS1_.kd
    .uniform_work_group_size: 1
    .uses_dynamic_stack: false
    .vgpr_count:     7
    .vgpr_spill_count: 0
    .wavefront_size: 64
  - .args:
      - .address_space:  global
        .offset:         0
        .size:           8
        .value_kind:     global_buffer
      - .address_space:  global
        .offset:         8
        .size:           8
        .value_kind:     global_buffer
    .group_segment_fixed_size: 512
    .kernarg_segment_align: 8
    .kernarg_segment_size: 16
    .language:       OpenCL C
    .language_version:
      - 2
      - 0
    .max_flat_workgroup_size: 256
    .name:           _Z6kernelI10flag_headshLj256ELj4ELb0ELj100EEvPKT0_PS1_
    .private_segment_fixed_size: 0
    .sgpr_count:     20
    .sgpr_spill_count: 0
    .symbol:         _Z6kernelI10flag_headshLj256ELj4ELb0ELj100EEvPKT0_PS1_.kd
    .uniform_work_group_size: 1
    .uses_dynamic_stack: false
    .vgpr_count:     8
    .vgpr_spill_count: 0
    .wavefront_size: 64
  - .args:
      - .address_space:  global
        .offset:         0
        .size:           8
        .value_kind:     global_buffer
      - .address_space:  global
        .offset:         8
        .size:           8
        .value_kind:     global_buffer
    .group_segment_fixed_size: 512
    .kernarg_segment_align: 8
    .kernarg_segment_size: 16
    .language:       OpenCL C
    .language_version:
      - 2
      - 0
    .max_flat_workgroup_size: 256
    .name:           _Z6kernelI10flag_headshLj256ELj8ELb0ELj100EEvPKT0_PS1_
    .private_segment_fixed_size: 0
    .sgpr_count:     14
    .sgpr_spill_count: 0
    .symbol:         _Z6kernelI10flag_headshLj256ELj8ELb0ELj100EEvPKT0_PS1_.kd
    .uniform_work_group_size: 1
    .uses_dynamic_stack: false
    .vgpr_count:     16
    .vgpr_spill_count: 0
    .wavefront_size: 64
  - .args:
      - .address_space:  global
        .offset:         0
        .size:           8
        .value_kind:     global_buffer
      - .address_space:  global
        .offset:         8
        .size:           8
        .value_kind:     global_buffer
    .group_segment_fixed_size: 512
    .kernarg_segment_align: 8
    .kernarg_segment_size: 16
    .language:       OpenCL C
    .language_version:
      - 2
      - 0
    .max_flat_workgroup_size: 256
    .name:           _Z6kernelI10flag_headshLj256ELj1ELb1ELj100EEvPKT0_PS1_
    .private_segment_fixed_size: 0
    .sgpr_count:     11
    .sgpr_spill_count: 0
    .symbol:         _Z6kernelI10flag_headshLj256ELj1ELb1ELj100EEvPKT0_PS1_.kd
    .uniform_work_group_size: 1
    .uses_dynamic_stack: false
    .vgpr_count:     4
    .vgpr_spill_count: 0
    .wavefront_size: 64
  - .args:
      - .address_space:  global
        .offset:         0
        .size:           8
        .value_kind:     global_buffer
      - .address_space:  global
        .offset:         8
        .size:           8
        .value_kind:     global_buffer
    .group_segment_fixed_size: 512
    .kernarg_segment_align: 8
    .kernarg_segment_size: 16
    .language:       OpenCL C
    .language_version:
      - 2
      - 0
    .max_flat_workgroup_size: 256
    .name:           _Z6kernelI10flag_headshLj256ELj2ELb1ELj100EEvPKT0_PS1_
    .private_segment_fixed_size: 0
    .sgpr_count:     11
    .sgpr_spill_count: 0
    .symbol:         _Z6kernelI10flag_headshLj256ELj2ELb1ELj100EEvPKT0_PS1_.kd
    .uniform_work_group_size: 1
    .uses_dynamic_stack: false
    .vgpr_count:     6
    .vgpr_spill_count: 0
    .wavefront_size: 64
  - .args:
      - .address_space:  global
        .offset:         0
        .size:           8
        .value_kind:     global_buffer
      - .address_space:  global
        .offset:         8
        .size:           8
        .value_kind:     global_buffer
    .group_segment_fixed_size: 512
    .kernarg_segment_align: 8
    .kernarg_segment_size: 16
    .language:       OpenCL C
    .language_version:
      - 2
      - 0
    .max_flat_workgroup_size: 256
    .name:           _Z6kernelI10flag_headshLj256ELj3ELb1ELj100EEvPKT0_PS1_
    .private_segment_fixed_size: 0
    .sgpr_count:     11
    .sgpr_spill_count: 0
    .symbol:         _Z6kernelI10flag_headshLj256ELj3ELb1ELj100EEvPKT0_PS1_.kd
    .uniform_work_group_size: 1
    .uses_dynamic_stack: false
    .vgpr_count:     8
    .vgpr_spill_count: 0
    .wavefront_size: 64
  - .args:
      - .address_space:  global
        .offset:         0
        .size:           8
        .value_kind:     global_buffer
      - .address_space:  global
        .offset:         8
        .size:           8
        .value_kind:     global_buffer
    .group_segment_fixed_size: 512
    .kernarg_segment_align: 8
    .kernarg_segment_size: 16
    .language:       OpenCL C
    .language_version:
      - 2
      - 0
    .max_flat_workgroup_size: 256
    .name:           _Z6kernelI10flag_headshLj256ELj4ELb1ELj100EEvPKT0_PS1_
    .private_segment_fixed_size: 0
    .sgpr_count:     11
    .sgpr_spill_count: 0
    .symbol:         _Z6kernelI10flag_headshLj256ELj4ELb1ELj100EEvPKT0_PS1_.kd
    .uniform_work_group_size: 1
    .uses_dynamic_stack: false
    .vgpr_count:     9
    .vgpr_spill_count: 0
    .wavefront_size: 64
  - .args:
      - .address_space:  global
        .offset:         0
        .size:           8
        .value_kind:     global_buffer
      - .address_space:  global
        .offset:         8
        .size:           8
        .value_kind:     global_buffer
    .group_segment_fixed_size: 512
    .kernarg_segment_align: 8
    .kernarg_segment_size: 16
    .language:       OpenCL C
    .language_version:
      - 2
      - 0
    .max_flat_workgroup_size: 256
    .name:           _Z6kernelI10flag_headshLj256ELj8ELb1ELj100EEvPKT0_PS1_
    .private_segment_fixed_size: 0
    .sgpr_count:     11
    .sgpr_spill_count: 0
    .symbol:         _Z6kernelI10flag_headshLj256ELj8ELb1ELj100EEvPKT0_PS1_.kd
    .uniform_work_group_size: 1
    .uses_dynamic_stack: false
    .vgpr_count:     16
    .vgpr_spill_count: 0
    .wavefront_size: 64
  - .args:
      - .address_space:  global
        .offset:         0
        .size:           8
        .value_kind:     global_buffer
      - .address_space:  global
        .offset:         8
        .size:           8
        .value_kind:     global_buffer
    .group_segment_fixed_size: 4096
    .kernarg_segment_align: 8
    .kernarg_segment_size: 16
    .language:       OpenCL C
    .language_version:
      - 2
      - 0
    .max_flat_workgroup_size: 256
    .name:           _Z6kernelI10flag_headsxLj256ELj1ELb0ELj100EEvPKT0_PS1_
    .private_segment_fixed_size: 0
    .sgpr_count:     14
    .sgpr_spill_count: 0
    .symbol:         _Z6kernelI10flag_headsxLj256ELj1ELb0ELj100EEvPKT0_PS1_.kd
    .uniform_work_group_size: 1
    .uses_dynamic_stack: false
    .vgpr_count:     7
    .vgpr_spill_count: 0
    .wavefront_size: 64
  - .args:
      - .address_space:  global
        .offset:         0
        .size:           8
        .value_kind:     global_buffer
      - .address_space:  global
        .offset:         8
        .size:           8
        .value_kind:     global_buffer
    .group_segment_fixed_size: 4096
    .kernarg_segment_align: 8
    .kernarg_segment_size: 16
    .language:       OpenCL C
    .language_version:
      - 2
      - 0
    .max_flat_workgroup_size: 256
    .name:           _Z6kernelI10flag_headsxLj256ELj2ELb0ELj100EEvPKT0_PS1_
    .private_segment_fixed_size: 0
    .sgpr_count:     16
    .sgpr_spill_count: 0
    .symbol:         _Z6kernelI10flag_headsxLj256ELj2ELb0ELj100EEvPKT0_PS1_.kd
    .uniform_work_group_size: 1
    .uses_dynamic_stack: false
    .vgpr_count:     9
    .vgpr_spill_count: 0
    .wavefront_size: 64
  - .args:
      - .address_space:  global
        .offset:         0
        .size:           8
        .value_kind:     global_buffer
      - .address_space:  global
        .offset:         8
        .size:           8
        .value_kind:     global_buffer
    .group_segment_fixed_size: 4096
    .kernarg_segment_align: 8
    .kernarg_segment_size: 16
    .language:       OpenCL C
    .language_version:
      - 2
      - 0
    .max_flat_workgroup_size: 256
    .name:           _Z6kernelI10flag_headsxLj256ELj3ELb0ELj100EEvPKT0_PS1_
    .private_segment_fixed_size: 0
    .sgpr_count:     17
    .sgpr_spill_count: 0
    .symbol:         _Z6kernelI10flag_headsxLj256ELj3ELb0ELj100EEvPKT0_PS1_.kd
    .uniform_work_group_size: 1
    .uses_dynamic_stack: false
    .vgpr_count:     12
    .vgpr_spill_count: 0
    .wavefront_size: 64
  - .args:
      - .address_space:  global
        .offset:         0
        .size:           8
        .value_kind:     global_buffer
      - .address_space:  global
        .offset:         8
        .size:           8
        .value_kind:     global_buffer
    .group_segment_fixed_size: 4096
    .kernarg_segment_align: 8
    .kernarg_segment_size: 16
    .language:       OpenCL C
    .language_version:
      - 2
      - 0
    .max_flat_workgroup_size: 256
    .name:           _Z6kernelI10flag_headsxLj256ELj4ELb0ELj100EEvPKT0_PS1_
    .private_segment_fixed_size: 0
    .sgpr_count:     20
    .sgpr_spill_count: 0
    .symbol:         _Z6kernelI10flag_headsxLj256ELj4ELb0ELj100EEvPKT0_PS1_.kd
    .uniform_work_group_size: 1
    .uses_dynamic_stack: false
    .vgpr_count:     13
    .vgpr_spill_count: 0
    .wavefront_size: 64
  - .args:
      - .address_space:  global
        .offset:         0
        .size:           8
        .value_kind:     global_buffer
      - .address_space:  global
        .offset:         8
        .size:           8
        .value_kind:     global_buffer
    .group_segment_fixed_size: 4096
    .kernarg_segment_align: 8
    .kernarg_segment_size: 16
    .language:       OpenCL C
    .language_version:
      - 2
      - 0
    .max_flat_workgroup_size: 256
    .name:           _Z6kernelI10flag_headsxLj256ELj8ELb0ELj100EEvPKT0_PS1_
    .private_segment_fixed_size: 0
    .sgpr_count:     28
    .sgpr_spill_count: 0
    .symbol:         _Z6kernelI10flag_headsxLj256ELj8ELb0ELj100EEvPKT0_PS1_.kd
    .uniform_work_group_size: 1
    .uses_dynamic_stack: false
    .vgpr_count:     24
    .vgpr_spill_count: 0
    .wavefront_size: 64
  - .args:
      - .address_space:  global
        .offset:         0
        .size:           8
        .value_kind:     global_buffer
      - .address_space:  global
        .offset:         8
        .size:           8
        .value_kind:     global_buffer
    .group_segment_fixed_size: 4096
    .kernarg_segment_align: 8
    .kernarg_segment_size: 16
    .language:       OpenCL C
    .language_version:
      - 2
      - 0
    .max_flat_workgroup_size: 256
    .name:           _Z6kernelI10flag_headsxLj256ELj1ELb1ELj100EEvPKT0_PS1_
    .private_segment_fixed_size: 0
    .sgpr_count:     11
    .sgpr_spill_count: 0
    .symbol:         _Z6kernelI10flag_headsxLj256ELj1ELb1ELj100EEvPKT0_PS1_.kd
    .uniform_work_group_size: 1
    .uses_dynamic_stack: false
    .vgpr_count:     7
    .vgpr_spill_count: 0
    .wavefront_size: 64
  - .args:
      - .address_space:  global
        .offset:         0
        .size:           8
        .value_kind:     global_buffer
      - .address_space:  global
        .offset:         8
        .size:           8
        .value_kind:     global_buffer
    .group_segment_fixed_size: 4096
    .kernarg_segment_align: 8
    .kernarg_segment_size: 16
    .language:       OpenCL C
    .language_version:
      - 2
      - 0
    .max_flat_workgroup_size: 256
    .name:           _Z6kernelI10flag_headsxLj256ELj2ELb1ELj100EEvPKT0_PS1_
    .private_segment_fixed_size: 0
    .sgpr_count:     16
    .sgpr_spill_count: 0
    .symbol:         _Z6kernelI10flag_headsxLj256ELj2ELb1ELj100EEvPKT0_PS1_.kd
    .uniform_work_group_size: 1
    .uses_dynamic_stack: false
    .vgpr_count:     9
    .vgpr_spill_count: 0
    .wavefront_size: 64
  - .args:
      - .address_space:  global
        .offset:         0
        .size:           8
        .value_kind:     global_buffer
      - .address_space:  global
        .offset:         8
        .size:           8
        .value_kind:     global_buffer
    .group_segment_fixed_size: 4096
    .kernarg_segment_align: 8
    .kernarg_segment_size: 16
    .language:       OpenCL C
    .language_version:
      - 2
      - 0
    .max_flat_workgroup_size: 256
    .name:           _Z6kernelI10flag_headsxLj256ELj3ELb1ELj100EEvPKT0_PS1_
    .private_segment_fixed_size: 0
    .sgpr_count:     16
    .sgpr_spill_count: 0
    .symbol:         _Z6kernelI10flag_headsxLj256ELj3ELb1ELj100EEvPKT0_PS1_.kd
    .uniform_work_group_size: 1
    .uses_dynamic_stack: false
    .vgpr_count:     11
    .vgpr_spill_count: 0
    .wavefront_size: 64
  - .args:
      - .address_space:  global
        .offset:         0
        .size:           8
        .value_kind:     global_buffer
      - .address_space:  global
        .offset:         8
        .size:           8
        .value_kind:     global_buffer
    .group_segment_fixed_size: 4096
    .kernarg_segment_align: 8
    .kernarg_segment_size: 16
    .language:       OpenCL C
    .language_version:
      - 2
      - 0
    .max_flat_workgroup_size: 256
    .name:           _Z6kernelI10flag_headsxLj256ELj4ELb1ELj100EEvPKT0_PS1_
    .private_segment_fixed_size: 0
    .sgpr_count:     18
    .sgpr_spill_count: 0
    .symbol:         _Z6kernelI10flag_headsxLj256ELj4ELb1ELj100EEvPKT0_PS1_.kd
    .uniform_work_group_size: 1
    .uses_dynamic_stack: false
    .vgpr_count:     13
    .vgpr_spill_count: 0
    .wavefront_size: 64
  - .args:
      - .address_space:  global
        .offset:         0
        .size:           8
        .value_kind:     global_buffer
      - .address_space:  global
        .offset:         8
        .size:           8
        .value_kind:     global_buffer
    .group_segment_fixed_size: 4096
    .kernarg_segment_align: 8
    .kernarg_segment_size: 16
    .language:       OpenCL C
    .language_version:
      - 2
      - 0
    .max_flat_workgroup_size: 256
    .name:           _Z6kernelI10flag_headsxLj256ELj8ELb1ELj100EEvPKT0_PS1_
    .private_segment_fixed_size: 0
    .sgpr_count:     26
    .sgpr_spill_count: 0
    .symbol:         _Z6kernelI10flag_headsxLj256ELj8ELb1ELj100EEvPKT0_PS1_.kd
    .uniform_work_group_size: 1
    .uses_dynamic_stack: false
    .vgpr_count:     24
    .vgpr_spill_count: 0
    .wavefront_size: 64
  - .args:
      - .address_space:  global
        .offset:         0
        .size:           8
        .value_kind:     global_buffer
      - .address_space:  global
        .offset:         8
        .size:           8
        .value_kind:     global_buffer
    .group_segment_fixed_size: 2048
    .kernarg_segment_align: 8
    .kernarg_segment_size: 16
    .language:       OpenCL C
    .language_version:
      - 2
      - 0
    .max_flat_workgroup_size: 256
    .name:           _Z6kernelI10flag_tailsiLj256ELj1ELb0ELj100EEvPKT0_PS1_
    .private_segment_fixed_size: 0
    .sgpr_count:     13
    .sgpr_spill_count: 0
    .symbol:         _Z6kernelI10flag_tailsiLj256ELj1ELb0ELj100EEvPKT0_PS1_.kd
    .uniform_work_group_size: 1
    .uses_dynamic_stack: false
    .vgpr_count:     4
    .vgpr_spill_count: 0
    .wavefront_size: 64
  - .args:
      - .address_space:  global
        .offset:         0
        .size:           8
        .value_kind:     global_buffer
      - .address_space:  global
        .offset:         8
        .size:           8
        .value_kind:     global_buffer
    .group_segment_fixed_size: 2048
    .kernarg_segment_align: 8
    .kernarg_segment_size: 16
    .language:       OpenCL C
    .language_version:
      - 2
      - 0
    .max_flat_workgroup_size: 256
    .name:           _Z6kernelI10flag_tailsiLj256ELj2ELb0ELj100EEvPKT0_PS1_
    .private_segment_fixed_size: 0
    .sgpr_count:     16
    .sgpr_spill_count: 0
    .symbol:         _Z6kernelI10flag_tailsiLj256ELj2ELb0ELj100EEvPKT0_PS1_.kd
    .uniform_work_group_size: 1
    .uses_dynamic_stack: false
    .vgpr_count:     6
    .vgpr_spill_count: 0
    .wavefront_size: 64
  - .args:
      - .address_space:  global
        .offset:         0
        .size:           8
        .value_kind:     global_buffer
      - .address_space:  global
        .offset:         8
        .size:           8
        .value_kind:     global_buffer
    .group_segment_fixed_size: 2048
    .kernarg_segment_align: 8
    .kernarg_segment_size: 16
    .language:       OpenCL C
    .language_version:
      - 2
      - 0
    .max_flat_workgroup_size: 256
    .name:           _Z6kernelI10flag_tailsiLj256ELj3ELb0ELj100EEvPKT0_PS1_
    .private_segment_fixed_size: 0
    .sgpr_count:     17
    .sgpr_spill_count: 0
    .symbol:         _Z6kernelI10flag_tailsiLj256ELj3ELb0ELj100EEvPKT0_PS1_.kd
    .uniform_work_group_size: 1
    .uses_dynamic_stack: false
    .vgpr_count:     8
    .vgpr_spill_count: 0
    .wavefront_size: 64
  - .args:
      - .address_space:  global
        .offset:         0
        .size:           8
        .value_kind:     global_buffer
      - .address_space:  global
        .offset:         8
        .size:           8
        .value_kind:     global_buffer
    .group_segment_fixed_size: 2048
    .kernarg_segment_align: 8
    .kernarg_segment_size: 16
    .language:       OpenCL C
    .language_version:
      - 2
      - 0
    .max_flat_workgroup_size: 256
    .name:           _Z6kernelI10flag_tailsiLj256ELj4ELb0ELj100EEvPKT0_PS1_
    .private_segment_fixed_size: 0
    .sgpr_count:     19
    .sgpr_spill_count: 0
    .symbol:         _Z6kernelI10flag_tailsiLj256ELj4ELb0ELj100EEvPKT0_PS1_.kd
    .uniform_work_group_size: 1
    .uses_dynamic_stack: false
    .vgpr_count:     10
    .vgpr_spill_count: 0
    .wavefront_size: 64
  - .args:
      - .address_space:  global
        .offset:         0
        .size:           8
        .value_kind:     global_buffer
      - .address_space:  global
        .offset:         8
        .size:           8
        .value_kind:     global_buffer
    .group_segment_fixed_size: 2048
    .kernarg_segment_align: 8
    .kernarg_segment_size: 16
    .language:       OpenCL C
    .language_version:
      - 2
      - 0
    .max_flat_workgroup_size: 256
    .name:           _Z6kernelI10flag_tailsiLj256ELj8ELb0ELj100EEvPKT0_PS1_
    .private_segment_fixed_size: 0
    .sgpr_count:     13
    .sgpr_spill_count: 0
    .symbol:         _Z6kernelI10flag_tailsiLj256ELj8ELb0ELj100EEvPKT0_PS1_.kd
    .uniform_work_group_size: 1
    .uses_dynamic_stack: false
    .vgpr_count:     12
    .vgpr_spill_count: 0
    .wavefront_size: 64
  - .args:
      - .address_space:  global
        .offset:         0
        .size:           8
        .value_kind:     global_buffer
      - .address_space:  global
        .offset:         8
        .size:           8
        .value_kind:     global_buffer
    .group_segment_fixed_size: 2048
    .kernarg_segment_align: 8
    .kernarg_segment_size: 16
    .language:       OpenCL C
    .language_version:
      - 2
      - 0
    .max_flat_workgroup_size: 256
    .name:           _Z6kernelI10flag_tailsiLj256ELj1ELb1ELj100EEvPKT0_PS1_
    .private_segment_fixed_size: 0
    .sgpr_count:     11
    .sgpr_spill_count: 0
    .symbol:         _Z6kernelI10flag_tailsiLj256ELj1ELb1ELj100EEvPKT0_PS1_.kd
    .uniform_work_group_size: 1
    .uses_dynamic_stack: false
    .vgpr_count:     4
    .vgpr_spill_count: 0
    .wavefront_size: 64
  - .args:
      - .address_space:  global
        .offset:         0
        .size:           8
        .value_kind:     global_buffer
      - .address_space:  global
        .offset:         8
        .size:           8
        .value_kind:     global_buffer
    .group_segment_fixed_size: 2048
    .kernarg_segment_align: 8
    .kernarg_segment_size: 16
    .language:       OpenCL C
    .language_version:
      - 2
      - 0
    .max_flat_workgroup_size: 256
    .name:           _Z6kernelI10flag_tailsiLj256ELj2ELb1ELj100EEvPKT0_PS1_
    .private_segment_fixed_size: 0
    .sgpr_count:     11
    .sgpr_spill_count: 0
    .symbol:         _Z6kernelI10flag_tailsiLj256ELj2ELb1ELj100EEvPKT0_PS1_.kd
    .uniform_work_group_size: 1
    .uses_dynamic_stack: false
    .vgpr_count:     5
    .vgpr_spill_count: 0
    .wavefront_size: 64
  - .args:
      - .address_space:  global
        .offset:         0
        .size:           8
        .value_kind:     global_buffer
      - .address_space:  global
        .offset:         8
        .size:           8
        .value_kind:     global_buffer
    .group_segment_fixed_size: 2048
    .kernarg_segment_align: 8
    .kernarg_segment_size: 16
    .language:       OpenCL C
    .language_version:
      - 2
      - 0
    .max_flat_workgroup_size: 256
    .name:           _Z6kernelI10flag_tailsiLj256ELj3ELb1ELj100EEvPKT0_PS1_
    .private_segment_fixed_size: 0
    .sgpr_count:     11
    .sgpr_spill_count: 0
    .symbol:         _Z6kernelI10flag_tailsiLj256ELj3ELb1ELj100EEvPKT0_PS1_.kd
    .uniform_work_group_size: 1
    .uses_dynamic_stack: false
    .vgpr_count:     6
    .vgpr_spill_count: 0
    .wavefront_size: 64
  - .args:
      - .address_space:  global
        .offset:         0
        .size:           8
        .value_kind:     global_buffer
      - .address_space:  global
        .offset:         8
        .size:           8
        .value_kind:     global_buffer
    .group_segment_fixed_size: 2048
    .kernarg_segment_align: 8
    .kernarg_segment_size: 16
    .language:       OpenCL C
    .language_version:
      - 2
      - 0
    .max_flat_workgroup_size: 256
    .name:           _Z6kernelI10flag_tailsiLj256ELj4ELb1ELj100EEvPKT0_PS1_
    .private_segment_fixed_size: 0
    .sgpr_count:     11
    .sgpr_spill_count: 0
    .symbol:         _Z6kernelI10flag_tailsiLj256ELj4ELb1ELj100EEvPKT0_PS1_.kd
    .uniform_work_group_size: 1
    .uses_dynamic_stack: false
    .vgpr_count:     7
    .vgpr_spill_count: 0
    .wavefront_size: 64
  - .args:
      - .address_space:  global
        .offset:         0
        .size:           8
        .value_kind:     global_buffer
      - .address_space:  global
        .offset:         8
        .size:           8
        .value_kind:     global_buffer
    .group_segment_fixed_size: 2048
    .kernarg_segment_align: 8
    .kernarg_segment_size: 16
    .language:       OpenCL C
    .language_version:
      - 2
      - 0
    .max_flat_workgroup_size: 256
    .name:           _Z6kernelI10flag_tailsiLj256ELj8ELb1ELj100EEvPKT0_PS1_
    .private_segment_fixed_size: 0
    .sgpr_count:     11
    .sgpr_spill_count: 0
    .symbol:         _Z6kernelI10flag_tailsiLj256ELj8ELb1ELj100EEvPKT0_PS1_.kd
    .uniform_work_group_size: 1
    .uses_dynamic_stack: false
    .vgpr_count:     12
    .vgpr_spill_count: 0
    .wavefront_size: 64
  - .args:
      - .address_space:  global
        .offset:         0
        .size:           8
        .value_kind:     global_buffer
      - .address_space:  global
        .offset:         8
        .size:           8
        .value_kind:     global_buffer
    .group_segment_fixed_size: 512
    .kernarg_segment_align: 8
    .kernarg_segment_size: 16
    .language:       OpenCL C
    .language_version:
      - 2
      - 0
    .max_flat_workgroup_size: 256
    .name:           _Z6kernelI10flag_tailsaLj256ELj1ELb0ELj100EEvPKT0_PS1_
    .private_segment_fixed_size: 0
    .sgpr_count:     12
    .sgpr_spill_count: 0
    .symbol:         _Z6kernelI10flag_tailsaLj256ELj1ELb0ELj100EEvPKT0_PS1_.kd
    .uniform_work_group_size: 1
    .uses_dynamic_stack: false
    .vgpr_count:     4
    .vgpr_spill_count: 0
    .wavefront_size: 64
  - .args:
      - .address_space:  global
        .offset:         0
        .size:           8
        .value_kind:     global_buffer
      - .address_space:  global
        .offset:         8
        .size:           8
        .value_kind:     global_buffer
    .group_segment_fixed_size: 512
    .kernarg_segment_align: 8
    .kernarg_segment_size: 16
    .language:       OpenCL C
    .language_version:
      - 2
      - 0
    .max_flat_workgroup_size: 256
    .name:           _Z6kernelI10flag_tailsaLj256ELj2ELb0ELj100EEvPKT0_PS1_
    .private_segment_fixed_size: 0
    .sgpr_count:     14
    .sgpr_spill_count: 0
    .symbol:         _Z6kernelI10flag_tailsaLj256ELj2ELb0ELj100EEvPKT0_PS1_.kd
    .uniform_work_group_size: 1
    .uses_dynamic_stack: false
    .vgpr_count:     4
    .vgpr_spill_count: 0
    .wavefront_size: 64
  - .args:
      - .address_space:  global
        .offset:         0
        .size:           8
        .value_kind:     global_buffer
      - .address_space:  global
        .offset:         8
        .size:           8
        .value_kind:     global_buffer
    .group_segment_fixed_size: 512
    .kernarg_segment_align: 8
    .kernarg_segment_size: 16
    .language:       OpenCL C
    .language_version:
      - 2
      - 0
    .max_flat_workgroup_size: 256
    .name:           _Z6kernelI10flag_tailsaLj256ELj3ELb0ELj100EEvPKT0_PS1_
    .private_segment_fixed_size: 0
    .sgpr_count:     18
    .sgpr_spill_count: 0
    .symbol:         _Z6kernelI10flag_tailsaLj256ELj3ELb0ELj100EEvPKT0_PS1_.kd
    .uniform_work_group_size: 1
    .uses_dynamic_stack: false
    .vgpr_count:     6
    .vgpr_spill_count: 0
    .wavefront_size: 64
  - .args:
      - .address_space:  global
        .offset:         0
        .size:           8
        .value_kind:     global_buffer
      - .address_space:  global
        .offset:         8
        .size:           8
        .value_kind:     global_buffer
    .group_segment_fixed_size: 512
    .kernarg_segment_align: 8
    .kernarg_segment_size: 16
    .language:       OpenCL C
    .language_version:
      - 2
      - 0
    .max_flat_workgroup_size: 256
    .name:           _Z6kernelI10flag_tailsaLj256ELj4ELb0ELj100EEvPKT0_PS1_
    .private_segment_fixed_size: 0
    .sgpr_count:     20
    .sgpr_spill_count: 0
    .symbol:         _Z6kernelI10flag_tailsaLj256ELj4ELb0ELj100EEvPKT0_PS1_.kd
    .uniform_work_group_size: 1
    .uses_dynamic_stack: false
    .vgpr_count:     6
    .vgpr_spill_count: 0
    .wavefront_size: 64
  - .args:
      - .address_space:  global
        .offset:         0
        .size:           8
        .value_kind:     global_buffer
      - .address_space:  global
        .offset:         8
        .size:           8
        .value_kind:     global_buffer
    .group_segment_fixed_size: 512
    .kernarg_segment_align: 8
    .kernarg_segment_size: 16
    .language:       OpenCL C
    .language_version:
      - 2
      - 0
    .max_flat_workgroup_size: 256
    .name:           _Z6kernelI10flag_tailsaLj256ELj8ELb0ELj100EEvPKT0_PS1_
    .private_segment_fixed_size: 0
    .sgpr_count:     16
    .sgpr_spill_count: 0
    .symbol:         _Z6kernelI10flag_tailsaLj256ELj8ELb0ELj100EEvPKT0_PS1_.kd
    .uniform_work_group_size: 1
    .uses_dynamic_stack: false
    .vgpr_count:     14
    .vgpr_spill_count: 0
    .wavefront_size: 64
  - .args:
      - .address_space:  global
        .offset:         0
        .size:           8
        .value_kind:     global_buffer
      - .address_space:  global
        .offset:         8
        .size:           8
        .value_kind:     global_buffer
    .group_segment_fixed_size: 512
    .kernarg_segment_align: 8
    .kernarg_segment_size: 16
    .language:       OpenCL C
    .language_version:
      - 2
      - 0
    .max_flat_workgroup_size: 256
    .name:           _Z6kernelI10flag_tailsaLj256ELj1ELb1ELj100EEvPKT0_PS1_
    .private_segment_fixed_size: 0
    .sgpr_count:     11
    .sgpr_spill_count: 0
    .symbol:         _Z6kernelI10flag_tailsaLj256ELj1ELb1ELj100EEvPKT0_PS1_.kd
    .uniform_work_group_size: 1
    .uses_dynamic_stack: false
    .vgpr_count:     4
    .vgpr_spill_count: 0
    .wavefront_size: 64
  - .args:
      - .address_space:  global
        .offset:         0
        .size:           8
        .value_kind:     global_buffer
      - .address_space:  global
        .offset:         8
        .size:           8
        .value_kind:     global_buffer
    .group_segment_fixed_size: 512
    .kernarg_segment_align: 8
    .kernarg_segment_size: 16
    .language:       OpenCL C
    .language_version:
      - 2
      - 0
    .max_flat_workgroup_size: 256
    .name:           _Z6kernelI10flag_tailsaLj256ELj2ELb1ELj100EEvPKT0_PS1_
    .private_segment_fixed_size: 0
    .sgpr_count:     11
    .sgpr_spill_count: 0
    .symbol:         _Z6kernelI10flag_tailsaLj256ELj2ELb1ELj100EEvPKT0_PS1_.kd
    .uniform_work_group_size: 1
    .uses_dynamic_stack: false
    .vgpr_count:     5
    .vgpr_spill_count: 0
    .wavefront_size: 64
  - .args:
      - .address_space:  global
        .offset:         0
        .size:           8
        .value_kind:     global_buffer
      - .address_space:  global
        .offset:         8
        .size:           8
        .value_kind:     global_buffer
    .group_segment_fixed_size: 512
    .kernarg_segment_align: 8
    .kernarg_segment_size: 16
    .language:       OpenCL C
    .language_version:
      - 2
      - 0
    .max_flat_workgroup_size: 256
    .name:           _Z6kernelI10flag_tailsaLj256ELj3ELb1ELj100EEvPKT0_PS1_
    .private_segment_fixed_size: 0
    .sgpr_count:     11
    .sgpr_spill_count: 0
    .symbol:         _Z6kernelI10flag_tailsaLj256ELj3ELb1ELj100EEvPKT0_PS1_.kd
    .uniform_work_group_size: 1
    .uses_dynamic_stack: false
    .vgpr_count:     7
    .vgpr_spill_count: 0
    .wavefront_size: 64
  - .args:
      - .address_space:  global
        .offset:         0
        .size:           8
        .value_kind:     global_buffer
      - .address_space:  global
        .offset:         8
        .size:           8
        .value_kind:     global_buffer
    .group_segment_fixed_size: 512
    .kernarg_segment_align: 8
    .kernarg_segment_size: 16
    .language:       OpenCL C
    .language_version:
      - 2
      - 0
    .max_flat_workgroup_size: 256
    .name:           _Z6kernelI10flag_tailsaLj256ELj4ELb1ELj100EEvPKT0_PS1_
    .private_segment_fixed_size: 0
    .sgpr_count:     11
    .sgpr_spill_count: 0
    .symbol:         _Z6kernelI10flag_tailsaLj256ELj4ELb1ELj100EEvPKT0_PS1_.kd
    .uniform_work_group_size: 1
    .uses_dynamic_stack: false
    .vgpr_count:     8
    .vgpr_spill_count: 0
    .wavefront_size: 64
  - .args:
      - .address_space:  global
        .offset:         0
        .size:           8
        .value_kind:     global_buffer
      - .address_space:  global
        .offset:         8
        .size:           8
        .value_kind:     global_buffer
    .group_segment_fixed_size: 512
    .kernarg_segment_align: 8
    .kernarg_segment_size: 16
    .language:       OpenCL C
    .language_version:
      - 2
      - 0
    .max_flat_workgroup_size: 256
    .name:           _Z6kernelI10flag_tailsaLj256ELj8ELb1ELj100EEvPKT0_PS1_
    .private_segment_fixed_size: 0
    .sgpr_count:     11
    .sgpr_spill_count: 0
    .symbol:         _Z6kernelI10flag_tailsaLj256ELj8ELb1ELj100EEvPKT0_PS1_.kd
    .uniform_work_group_size: 1
    .uses_dynamic_stack: false
    .vgpr_count:     16
    .vgpr_spill_count: 0
    .wavefront_size: 64
  - .args:
      - .address_space:  global
        .offset:         0
        .size:           8
        .value_kind:     global_buffer
      - .address_space:  global
        .offset:         8
        .size:           8
        .value_kind:     global_buffer
    .group_segment_fixed_size: 512
    .kernarg_segment_align: 8
    .kernarg_segment_size: 16
    .language:       OpenCL C
    .language_version:
      - 2
      - 0
    .max_flat_workgroup_size: 256
    .name:           _Z6kernelI10flag_tailshLj256ELj1ELb0ELj100EEvPKT0_PS1_
    .private_segment_fixed_size: 0
    .sgpr_count:     12
    .sgpr_spill_count: 0
    .symbol:         _Z6kernelI10flag_tailshLj256ELj1ELb0ELj100EEvPKT0_PS1_.kd
    .uniform_work_group_size: 1
    .uses_dynamic_stack: false
    .vgpr_count:     4
    .vgpr_spill_count: 0
    .wavefront_size: 64
  - .args:
      - .address_space:  global
        .offset:         0
        .size:           8
        .value_kind:     global_buffer
      - .address_space:  global
        .offset:         8
        .size:           8
        .value_kind:     global_buffer
    .group_segment_fixed_size: 512
    .kernarg_segment_align: 8
    .kernarg_segment_size: 16
    .language:       OpenCL C
    .language_version:
      - 2
      - 0
    .max_flat_workgroup_size: 256
    .name:           _Z6kernelI10flag_tailshLj256ELj2ELb0ELj100EEvPKT0_PS1_
    .private_segment_fixed_size: 0
    .sgpr_count:     14
    .sgpr_spill_count: 0
    .symbol:         _Z6kernelI10flag_tailshLj256ELj2ELb0ELj100EEvPKT0_PS1_.kd
    .uniform_work_group_size: 1
    .uses_dynamic_stack: false
    .vgpr_count:     4
    .vgpr_spill_count: 0
    .wavefront_size: 64
  - .args:
      - .address_space:  global
        .offset:         0
        .size:           8
        .value_kind:     global_buffer
      - .address_space:  global
        .offset:         8
        .size:           8
        .value_kind:     global_buffer
    .group_segment_fixed_size: 512
    .kernarg_segment_align: 8
    .kernarg_segment_size: 16
    .language:       OpenCL C
    .language_version:
      - 2
      - 0
    .max_flat_workgroup_size: 256
    .name:           _Z6kernelI10flag_tailshLj256ELj3ELb0ELj100EEvPKT0_PS1_
    .private_segment_fixed_size: 0
    .sgpr_count:     18
    .sgpr_spill_count: 0
    .symbol:         _Z6kernelI10flag_tailshLj256ELj3ELb0ELj100EEvPKT0_PS1_.kd
    .uniform_work_group_size: 1
    .uses_dynamic_stack: false
    .vgpr_count:     6
    .vgpr_spill_count: 0
    .wavefront_size: 64
  - .args:
      - .address_space:  global
        .offset:         0
        .size:           8
        .value_kind:     global_buffer
      - .address_space:  global
        .offset:         8
        .size:           8
        .value_kind:     global_buffer
    .group_segment_fixed_size: 512
    .kernarg_segment_align: 8
    .kernarg_segment_size: 16
    .language:       OpenCL C
    .language_version:
      - 2
      - 0
    .max_flat_workgroup_size: 256
    .name:           _Z6kernelI10flag_tailshLj256ELj4ELb0ELj100EEvPKT0_PS1_
    .private_segment_fixed_size: 0
    .sgpr_count:     20
    .sgpr_spill_count: 0
    .symbol:         _Z6kernelI10flag_tailshLj256ELj4ELb0ELj100EEvPKT0_PS1_.kd
    .uniform_work_group_size: 1
    .uses_dynamic_stack: false
    .vgpr_count:     6
    .vgpr_spill_count: 0
    .wavefront_size: 64
  - .args:
      - .address_space:  global
        .offset:         0
        .size:           8
        .value_kind:     global_buffer
      - .address_space:  global
        .offset:         8
        .size:           8
        .value_kind:     global_buffer
    .group_segment_fixed_size: 512
    .kernarg_segment_align: 8
    .kernarg_segment_size: 16
    .language:       OpenCL C
    .language_version:
      - 2
      - 0
    .max_flat_workgroup_size: 256
    .name:           _Z6kernelI10flag_tailshLj256ELj8ELb0ELj100EEvPKT0_PS1_
    .private_segment_fixed_size: 0
    .sgpr_count:     16
    .sgpr_spill_count: 0
    .symbol:         _Z6kernelI10flag_tailshLj256ELj8ELb0ELj100EEvPKT0_PS1_.kd
    .uniform_work_group_size: 1
    .uses_dynamic_stack: false
    .vgpr_count:     14
    .vgpr_spill_count: 0
    .wavefront_size: 64
  - .args:
      - .address_space:  global
        .offset:         0
        .size:           8
        .value_kind:     global_buffer
      - .address_space:  global
        .offset:         8
        .size:           8
        .value_kind:     global_buffer
    .group_segment_fixed_size: 512
    .kernarg_segment_align: 8
    .kernarg_segment_size: 16
    .language:       OpenCL C
    .language_version:
      - 2
      - 0
    .max_flat_workgroup_size: 256
    .name:           _Z6kernelI10flag_tailshLj256ELj1ELb1ELj100EEvPKT0_PS1_
    .private_segment_fixed_size: 0
    .sgpr_count:     11
    .sgpr_spill_count: 0
    .symbol:         _Z6kernelI10flag_tailshLj256ELj1ELb1ELj100EEvPKT0_PS1_.kd
    .uniform_work_group_size: 1
    .uses_dynamic_stack: false
    .vgpr_count:     4
    .vgpr_spill_count: 0
    .wavefront_size: 64
  - .args:
      - .address_space:  global
        .offset:         0
        .size:           8
        .value_kind:     global_buffer
      - .address_space:  global
        .offset:         8
        .size:           8
        .value_kind:     global_buffer
    .group_segment_fixed_size: 512
    .kernarg_segment_align: 8
    .kernarg_segment_size: 16
    .language:       OpenCL C
    .language_version:
      - 2
      - 0
    .max_flat_workgroup_size: 256
    .name:           _Z6kernelI10flag_tailshLj256ELj2ELb1ELj100EEvPKT0_PS1_
    .private_segment_fixed_size: 0
    .sgpr_count:     11
    .sgpr_spill_count: 0
    .symbol:         _Z6kernelI10flag_tailshLj256ELj2ELb1ELj100EEvPKT0_PS1_.kd
    .uniform_work_group_size: 1
    .uses_dynamic_stack: false
    .vgpr_count:     5
    .vgpr_spill_count: 0
    .wavefront_size: 64
  - .args:
      - .address_space:  global
        .offset:         0
        .size:           8
        .value_kind:     global_buffer
      - .address_space:  global
        .offset:         8
        .size:           8
        .value_kind:     global_buffer
    .group_segment_fixed_size: 512
    .kernarg_segment_align: 8
    .kernarg_segment_size: 16
    .language:       OpenCL C
    .language_version:
      - 2
      - 0
    .max_flat_workgroup_size: 256
    .name:           _Z6kernelI10flag_tailshLj256ELj3ELb1ELj100EEvPKT0_PS1_
    .private_segment_fixed_size: 0
    .sgpr_count:     11
    .sgpr_spill_count: 0
    .symbol:         _Z6kernelI10flag_tailshLj256ELj3ELb1ELj100EEvPKT0_PS1_.kd
    .uniform_work_group_size: 1
    .uses_dynamic_stack: false
    .vgpr_count:     7
    .vgpr_spill_count: 0
    .wavefront_size: 64
  - .args:
      - .address_space:  global
        .offset:         0
        .size:           8
        .value_kind:     global_buffer
      - .address_space:  global
        .offset:         8
        .size:           8
        .value_kind:     global_buffer
    .group_segment_fixed_size: 512
    .kernarg_segment_align: 8
    .kernarg_segment_size: 16
    .language:       OpenCL C
    .language_version:
      - 2
      - 0
    .max_flat_workgroup_size: 256
    .name:           _Z6kernelI10flag_tailshLj256ELj4ELb1ELj100EEvPKT0_PS1_
    .private_segment_fixed_size: 0
    .sgpr_count:     11
    .sgpr_spill_count: 0
    .symbol:         _Z6kernelI10flag_tailshLj256ELj4ELb1ELj100EEvPKT0_PS1_.kd
    .uniform_work_group_size: 1
    .uses_dynamic_stack: false
    .vgpr_count:     8
    .vgpr_spill_count: 0
    .wavefront_size: 64
  - .args:
      - .address_space:  global
        .offset:         0
        .size:           8
        .value_kind:     global_buffer
      - .address_space:  global
        .offset:         8
        .size:           8
        .value_kind:     global_buffer
    .group_segment_fixed_size: 512
    .kernarg_segment_align: 8
    .kernarg_segment_size: 16
    .language:       OpenCL C
    .language_version:
      - 2
      - 0
    .max_flat_workgroup_size: 256
    .name:           _Z6kernelI10flag_tailshLj256ELj8ELb1ELj100EEvPKT0_PS1_
    .private_segment_fixed_size: 0
    .sgpr_count:     11
    .sgpr_spill_count: 0
    .symbol:         _Z6kernelI10flag_tailshLj256ELj8ELb1ELj100EEvPKT0_PS1_.kd
    .uniform_work_group_size: 1
    .uses_dynamic_stack: false
    .vgpr_count:     16
    .vgpr_spill_count: 0
    .wavefront_size: 64
  - .args:
      - .address_space:  global
        .offset:         0
        .size:           8
        .value_kind:     global_buffer
      - .address_space:  global
        .offset:         8
        .size:           8
        .value_kind:     global_buffer
    .group_segment_fixed_size: 4096
    .kernarg_segment_align: 8
    .kernarg_segment_size: 16
    .language:       OpenCL C
    .language_version:
      - 2
      - 0
    .max_flat_workgroup_size: 256
    .name:           _Z6kernelI10flag_tailsxLj256ELj1ELb0ELj100EEvPKT0_PS1_
    .private_segment_fixed_size: 0
    .sgpr_count:     14
    .sgpr_spill_count: 0
    .symbol:         _Z6kernelI10flag_tailsxLj256ELj1ELb0ELj100EEvPKT0_PS1_.kd
    .uniform_work_group_size: 1
    .uses_dynamic_stack: false
    .vgpr_count:     6
    .vgpr_spill_count: 0
    .wavefront_size: 64
  - .args:
      - .address_space:  global
        .offset:         0
        .size:           8
        .value_kind:     global_buffer
      - .address_space:  global
        .offset:         8
        .size:           8
        .value_kind:     global_buffer
    .group_segment_fixed_size: 4096
    .kernarg_segment_align: 8
    .kernarg_segment_size: 16
    .language:       OpenCL C
    .language_version:
      - 2
      - 0
    .max_flat_workgroup_size: 256
    .name:           _Z6kernelI10flag_tailsxLj256ELj2ELb0ELj100EEvPKT0_PS1_
    .private_segment_fixed_size: 0
    .sgpr_count:     16
    .sgpr_spill_count: 0
    .symbol:         _Z6kernelI10flag_tailsxLj256ELj2ELb0ELj100EEvPKT0_PS1_.kd
    .uniform_work_group_size: 1
    .uses_dynamic_stack: false
    .vgpr_count:     8
    .vgpr_spill_count: 0
    .wavefront_size: 64
  - .args:
      - .address_space:  global
        .offset:         0
        .size:           8
        .value_kind:     global_buffer
      - .address_space:  global
        .offset:         8
        .size:           8
        .value_kind:     global_buffer
    .group_segment_fixed_size: 4096
    .kernarg_segment_align: 8
    .kernarg_segment_size: 16
    .language:       OpenCL C
    .language_version:
      - 2
      - 0
    .max_flat_workgroup_size: 256
    .name:           _Z6kernelI10flag_tailsxLj256ELj3ELb0ELj100EEvPKT0_PS1_
    .private_segment_fixed_size: 0
    .sgpr_count:     17
    .sgpr_spill_count: 0
    .symbol:         _Z6kernelI10flag_tailsxLj256ELj3ELb0ELj100EEvPKT0_PS1_.kd
    .uniform_work_group_size: 1
    .uses_dynamic_stack: false
    .vgpr_count:     11
    .vgpr_spill_count: 0
    .wavefront_size: 64
  - .args:
      - .address_space:  global
        .offset:         0
        .size:           8
        .value_kind:     global_buffer
      - .address_space:  global
        .offset:         8
        .size:           8
        .value_kind:     global_buffer
    .group_segment_fixed_size: 4096
    .kernarg_segment_align: 8
    .kernarg_segment_size: 16
    .language:       OpenCL C
    .language_version:
      - 2
      - 0
    .max_flat_workgroup_size: 256
    .name:           _Z6kernelI10flag_tailsxLj256ELj4ELb0ELj100EEvPKT0_PS1_
    .private_segment_fixed_size: 0
    .sgpr_count:     14
    .sgpr_spill_count: 0
    .symbol:         _Z6kernelI10flag_tailsxLj256ELj4ELb0ELj100EEvPKT0_PS1_.kd
    .uniform_work_group_size: 1
    .uses_dynamic_stack: false
    .vgpr_count:     13
    .vgpr_spill_count: 0
    .wavefront_size: 64
  - .args:
      - .address_space:  global
        .offset:         0
        .size:           8
        .value_kind:     global_buffer
      - .address_space:  global
        .offset:         8
        .size:           8
        .value_kind:     global_buffer
    .group_segment_fixed_size: 4096
    .kernarg_segment_align: 8
    .kernarg_segment_size: 16
    .language:       OpenCL C
    .language_version:
      - 2
      - 0
    .max_flat_workgroup_size: 256
    .name:           _Z6kernelI10flag_tailsxLj256ELj8ELb0ELj100EEvPKT0_PS1_
    .private_segment_fixed_size: 0
    .sgpr_count:     14
    .sgpr_spill_count: 0
    .symbol:         _Z6kernelI10flag_tailsxLj256ELj8ELb0ELj100EEvPKT0_PS1_.kd
    .uniform_work_group_size: 1
    .uses_dynamic_stack: false
    .vgpr_count:     24
    .vgpr_spill_count: 0
    .wavefront_size: 64
  - .args:
      - .address_space:  global
        .offset:         0
        .size:           8
        .value_kind:     global_buffer
      - .address_space:  global
        .offset:         8
        .size:           8
        .value_kind:     global_buffer
    .group_segment_fixed_size: 4096
    .kernarg_segment_align: 8
    .kernarg_segment_size: 16
    .language:       OpenCL C
    .language_version:
      - 2
      - 0
    .max_flat_workgroup_size: 256
    .name:           _Z6kernelI10flag_tailsxLj256ELj1ELb1ELj100EEvPKT0_PS1_
    .private_segment_fixed_size: 0
    .sgpr_count:     11
    .sgpr_spill_count: 0
    .symbol:         _Z6kernelI10flag_tailsxLj256ELj1ELb1ELj100EEvPKT0_PS1_.kd
    .uniform_work_group_size: 1
    .uses_dynamic_stack: false
    .vgpr_count:     6
    .vgpr_spill_count: 0
    .wavefront_size: 64
  - .args:
      - .address_space:  global
        .offset:         0
        .size:           8
        .value_kind:     global_buffer
      - .address_space:  global
        .offset:         8
        .size:           8
        .value_kind:     global_buffer
    .group_segment_fixed_size: 4096
    .kernarg_segment_align: 8
    .kernarg_segment_size: 16
    .language:       OpenCL C
    .language_version:
      - 2
      - 0
    .max_flat_workgroup_size: 256
    .name:           _Z6kernelI10flag_tailsxLj256ELj2ELb1ELj100EEvPKT0_PS1_
    .private_segment_fixed_size: 0
    .sgpr_count:     11
    .sgpr_spill_count: 0
    .symbol:         _Z6kernelI10flag_tailsxLj256ELj2ELb1ELj100EEvPKT0_PS1_.kd
    .uniform_work_group_size: 1
    .uses_dynamic_stack: false
    .vgpr_count:     9
    .vgpr_spill_count: 0
    .wavefront_size: 64
  - .args:
      - .address_space:  global
        .offset:         0
        .size:           8
        .value_kind:     global_buffer
      - .address_space:  global
        .offset:         8
        .size:           8
        .value_kind:     global_buffer
    .group_segment_fixed_size: 4096
    .kernarg_segment_align: 8
    .kernarg_segment_size: 16
    .language:       OpenCL C
    .language_version:
      - 2
      - 0
    .max_flat_workgroup_size: 256
    .name:           _Z6kernelI10flag_tailsxLj256ELj3ELb1ELj100EEvPKT0_PS1_
    .private_segment_fixed_size: 0
    .sgpr_count:     11
    .sgpr_spill_count: 0
    .symbol:         _Z6kernelI10flag_tailsxLj256ELj3ELb1ELj100EEvPKT0_PS1_.kd
    .uniform_work_group_size: 1
    .uses_dynamic_stack: false
    .vgpr_count:     11
    .vgpr_spill_count: 0
    .wavefront_size: 64
  - .args:
      - .address_space:  global
        .offset:         0
        .size:           8
        .value_kind:     global_buffer
      - .address_space:  global
        .offset:         8
        .size:           8
        .value_kind:     global_buffer
    .group_segment_fixed_size: 4096
    .kernarg_segment_align: 8
    .kernarg_segment_size: 16
    .language:       OpenCL C
    .language_version:
      - 2
      - 0
    .max_flat_workgroup_size: 256
    .name:           _Z6kernelI10flag_tailsxLj256ELj4ELb1ELj100EEvPKT0_PS1_
    .private_segment_fixed_size: 0
    .sgpr_count:     11
    .sgpr_spill_count: 0
    .symbol:         _Z6kernelI10flag_tailsxLj256ELj4ELb1ELj100EEvPKT0_PS1_.kd
    .uniform_work_group_size: 1
    .uses_dynamic_stack: false
    .vgpr_count:     13
    .vgpr_spill_count: 0
    .wavefront_size: 64
  - .args:
      - .address_space:  global
        .offset:         0
        .size:           8
        .value_kind:     global_buffer
      - .address_space:  global
        .offset:         8
        .size:           8
        .value_kind:     global_buffer
    .group_segment_fixed_size: 4096
    .kernarg_segment_align: 8
    .kernarg_segment_size: 16
    .language:       OpenCL C
    .language_version:
      - 2
      - 0
    .max_flat_workgroup_size: 256
    .name:           _Z6kernelI10flag_tailsxLj256ELj8ELb1ELj100EEvPKT0_PS1_
    .private_segment_fixed_size: 0
    .sgpr_count:     11
    .sgpr_spill_count: 0
    .symbol:         _Z6kernelI10flag_tailsxLj256ELj8ELb1ELj100EEvPKT0_PS1_.kd
    .uniform_work_group_size: 1
    .uses_dynamic_stack: false
    .vgpr_count:     24
    .vgpr_spill_count: 0
    .wavefront_size: 64
  - .args:
      - .address_space:  global
        .offset:         0
        .size:           8
        .value_kind:     global_buffer
      - .address_space:  global
        .offset:         8
        .size:           8
        .value_kind:     global_buffer
    .group_segment_fixed_size: 2048
    .kernarg_segment_align: 8
    .kernarg_segment_size: 16
    .language:       OpenCL C
    .language_version:
      - 2
      - 0
    .max_flat_workgroup_size: 256
    .name:           _Z6kernelI20flag_heads_and_tailsiLj256ELj1ELb0ELj100EEvPKT0_PS1_
    .private_segment_fixed_size: 0
    .sgpr_count:     16
    .sgpr_spill_count: 0
    .symbol:         _Z6kernelI20flag_heads_and_tailsiLj256ELj1ELb0ELj100EEvPKT0_PS1_.kd
    .uniform_work_group_size: 1
    .uses_dynamic_stack: false
    .vgpr_count:     6
    .vgpr_spill_count: 0
    .wavefront_size: 64
  - .args:
      - .address_space:  global
        .offset:         0
        .size:           8
        .value_kind:     global_buffer
      - .address_space:  global
        .offset:         8
        .size:           8
        .value_kind:     global_buffer
    .group_segment_fixed_size: 2048
    .kernarg_segment_align: 8
    .kernarg_segment_size: 16
    .language:       OpenCL C
    .language_version:
      - 2
      - 0
    .max_flat_workgroup_size: 256
    .name:           _Z6kernelI20flag_heads_and_tailsiLj256ELj2ELb0ELj100EEvPKT0_PS1_
    .private_segment_fixed_size: 0
    .sgpr_count:     17
    .sgpr_spill_count: 0
    .symbol:         _Z6kernelI20flag_heads_and_tailsiLj256ELj2ELb0ELj100EEvPKT0_PS1_.kd
    .uniform_work_group_size: 1
    .uses_dynamic_stack: false
    .vgpr_count:     9
    .vgpr_spill_count: 0
    .wavefront_size: 64
  - .args:
      - .address_space:  global
        .offset:         0
        .size:           8
        .value_kind:     global_buffer
      - .address_space:  global
        .offset:         8
        .size:           8
        .value_kind:     global_buffer
    .group_segment_fixed_size: 2048
    .kernarg_segment_align: 8
    .kernarg_segment_size: 16
    .language:       OpenCL C
    .language_version:
      - 2
      - 0
    .max_flat_workgroup_size: 256
    .name:           _Z6kernelI20flag_heads_and_tailsiLj256ELj3ELb0ELj100EEvPKT0_PS1_
    .private_segment_fixed_size: 0
    .sgpr_count:     19
    .sgpr_spill_count: 0
    .symbol:         _Z6kernelI20flag_heads_and_tailsiLj256ELj3ELb0ELj100EEvPKT0_PS1_.kd
    .uniform_work_group_size: 1
    .uses_dynamic_stack: false
    .vgpr_count:     12
    .vgpr_spill_count: 0
    .wavefront_size: 64
  - .args:
      - .address_space:  global
        .offset:         0
        .size:           8
        .value_kind:     global_buffer
      - .address_space:  global
        .offset:         8
        .size:           8
        .value_kind:     global_buffer
    .group_segment_fixed_size: 2048
    .kernarg_segment_align: 8
    .kernarg_segment_size: 16
    .language:       OpenCL C
    .language_version:
      - 2
      - 0
    .max_flat_workgroup_size: 256
    .name:           _Z6kernelI20flag_heads_and_tailsiLj256ELj4ELb0ELj100EEvPKT0_PS1_
    .private_segment_fixed_size: 0
    .sgpr_count:     21
    .sgpr_spill_count: 0
    .symbol:         _Z6kernelI20flag_heads_and_tailsiLj256ELj4ELb0ELj100EEvPKT0_PS1_.kd
    .uniform_work_group_size: 1
    .uses_dynamic_stack: false
    .vgpr_count:     15
    .vgpr_spill_count: 0
    .wavefront_size: 64
  - .args:
      - .address_space:  global
        .offset:         0
        .size:           8
        .value_kind:     global_buffer
      - .address_space:  global
        .offset:         8
        .size:           8
        .value_kind:     global_buffer
    .group_segment_fixed_size: 2048
    .kernarg_segment_align: 8
    .kernarg_segment_size: 16
    .language:       OpenCL C
    .language_version:
      - 2
      - 0
    .max_flat_workgroup_size: 256
    .name:           _Z6kernelI20flag_heads_and_tailsiLj256ELj8ELb0ELj100EEvPKT0_PS1_
    .private_segment_fixed_size: 0
    .sgpr_count:     16
    .sgpr_spill_count: 0
    .symbol:         _Z6kernelI20flag_heads_and_tailsiLj256ELj8ELb0ELj100EEvPKT0_PS1_.kd
    .uniform_work_group_size: 1
    .uses_dynamic_stack: false
    .vgpr_count:     14
    .vgpr_spill_count: 0
    .wavefront_size: 64
  - .args:
      - .address_space:  global
        .offset:         0
        .size:           8
        .value_kind:     global_buffer
      - .address_space:  global
        .offset:         8
        .size:           8
        .value_kind:     global_buffer
    .group_segment_fixed_size: 2048
    .kernarg_segment_align: 8
    .kernarg_segment_size: 16
    .language:       OpenCL C
    .language_version:
      - 2
      - 0
    .max_flat_workgroup_size: 256
    .name:           _Z6kernelI20flag_heads_and_tailsiLj256ELj1ELb1ELj100EEvPKT0_PS1_
    .private_segment_fixed_size: 0
    .sgpr_count:     16
    .sgpr_spill_count: 0
    .symbol:         _Z6kernelI20flag_heads_and_tailsiLj256ELj1ELb1ELj100EEvPKT0_PS1_.kd
    .uniform_work_group_size: 1
    .uses_dynamic_stack: false
    .vgpr_count:     6
    .vgpr_spill_count: 0
    .wavefront_size: 64
  - .args:
      - .address_space:  global
        .offset:         0
        .size:           8
        .value_kind:     global_buffer
      - .address_space:  global
        .offset:         8
        .size:           8
        .value_kind:     global_buffer
    .group_segment_fixed_size: 2048
    .kernarg_segment_align: 8
    .kernarg_segment_size: 16
    .language:       OpenCL C
    .language_version:
      - 2
      - 0
    .max_flat_workgroup_size: 256
    .name:           _Z6kernelI20flag_heads_and_tailsiLj256ELj2ELb1ELj100EEvPKT0_PS1_
    .private_segment_fixed_size: 0
    .sgpr_count:     16
    .sgpr_spill_count: 0
    .symbol:         _Z6kernelI20flag_heads_and_tailsiLj256ELj2ELb1ELj100EEvPKT0_PS1_.kd
    .uniform_work_group_size: 1
    .uses_dynamic_stack: false
    .vgpr_count:     8
    .vgpr_spill_count: 0
    .wavefront_size: 64
  - .args:
      - .address_space:  global
        .offset:         0
        .size:           8
        .value_kind:     global_buffer
      - .address_space:  global
        .offset:         8
        .size:           8
        .value_kind:     global_buffer
    .group_segment_fixed_size: 2048
    .kernarg_segment_align: 8
    .kernarg_segment_size: 16
    .language:       OpenCL C
    .language_version:
      - 2
      - 0
    .max_flat_workgroup_size: 256
    .name:           _Z6kernelI20flag_heads_and_tailsiLj256ELj3ELb1ELj100EEvPKT0_PS1_
    .private_segment_fixed_size: 0
    .sgpr_count:     16
    .sgpr_spill_count: 0
    .symbol:         _Z6kernelI20flag_heads_and_tailsiLj256ELj3ELb1ELj100EEvPKT0_PS1_.kd
    .uniform_work_group_size: 1
    .uses_dynamic_stack: false
    .vgpr_count:     9
    .vgpr_spill_count: 0
    .wavefront_size: 64
  - .args:
      - .address_space:  global
        .offset:         0
        .size:           8
        .value_kind:     global_buffer
      - .address_space:  global
        .offset:         8
        .size:           8
        .value_kind:     global_buffer
    .group_segment_fixed_size: 2048
    .kernarg_segment_align: 8
    .kernarg_segment_size: 16
    .language:       OpenCL C
    .language_version:
      - 2
      - 0
    .max_flat_workgroup_size: 256
    .name:           _Z6kernelI20flag_heads_and_tailsiLj256ELj4ELb1ELj100EEvPKT0_PS1_
    .private_segment_fixed_size: 0
    .sgpr_count:     16
    .sgpr_spill_count: 0
    .symbol:         _Z6kernelI20flag_heads_and_tailsiLj256ELj4ELb1ELj100EEvPKT0_PS1_.kd
    .uniform_work_group_size: 1
    .uses_dynamic_stack: false
    .vgpr_count:     10
    .vgpr_spill_count: 0
    .wavefront_size: 64
  - .args:
      - .address_space:  global
        .offset:         0
        .size:           8
        .value_kind:     global_buffer
      - .address_space:  global
        .offset:         8
        .size:           8
        .value_kind:     global_buffer
    .group_segment_fixed_size: 2048
    .kernarg_segment_align: 8
    .kernarg_segment_size: 16
    .language:       OpenCL C
    .language_version:
      - 2
      - 0
    .max_flat_workgroup_size: 256
    .name:           _Z6kernelI20flag_heads_and_tailsiLj256ELj8ELb1ELj100EEvPKT0_PS1_
    .private_segment_fixed_size: 0
    .sgpr_count:     16
    .sgpr_spill_count: 0
    .symbol:         _Z6kernelI20flag_heads_and_tailsiLj256ELj8ELb1ELj100EEvPKT0_PS1_.kd
    .uniform_work_group_size: 1
    .uses_dynamic_stack: false
    .vgpr_count:     14
    .vgpr_spill_count: 0
    .wavefront_size: 64
  - .args:
      - .address_space:  global
        .offset:         0
        .size:           8
        .value_kind:     global_buffer
      - .address_space:  global
        .offset:         8
        .size:           8
        .value_kind:     global_buffer
    .group_segment_fixed_size: 512
    .kernarg_segment_align: 8
    .kernarg_segment_size: 16
    .language:       OpenCL C
    .language_version:
      - 2
      - 0
    .max_flat_workgroup_size: 256
    .name:           _Z6kernelI20flag_heads_and_tailsaLj256ELj1ELb0ELj100EEvPKT0_PS1_
    .private_segment_fixed_size: 0
    .sgpr_count:     14
    .sgpr_spill_count: 0
    .symbol:         _Z6kernelI20flag_heads_and_tailsaLj256ELj1ELb0ELj100EEvPKT0_PS1_.kd
    .uniform_work_group_size: 1
    .uses_dynamic_stack: false
    .vgpr_count:     5
    .vgpr_spill_count: 0
    .wavefront_size: 64
  - .args:
      - .address_space:  global
        .offset:         0
        .size:           8
        .value_kind:     global_buffer
      - .address_space:  global
        .offset:         8
        .size:           8
        .value_kind:     global_buffer
    .group_segment_fixed_size: 512
    .kernarg_segment_align: 8
    .kernarg_segment_size: 16
    .language:       OpenCL C
    .language_version:
      - 2
      - 0
    .max_flat_workgroup_size: 256
    .name:           _Z6kernelI20flag_heads_and_tailsaLj256ELj2ELb0ELj100EEvPKT0_PS1_
    .private_segment_fixed_size: 0
    .sgpr_count:     16
    .sgpr_spill_count: 0
    .symbol:         _Z6kernelI20flag_heads_and_tailsaLj256ELj2ELb0ELj100EEvPKT0_PS1_.kd
    .uniform_work_group_size: 1
    .uses_dynamic_stack: false
    .vgpr_count:     7
    .vgpr_spill_count: 0
    .wavefront_size: 64
  - .args:
      - .address_space:  global
        .offset:         0
        .size:           8
        .value_kind:     global_buffer
      - .address_space:  global
        .offset:         8
        .size:           8
        .value_kind:     global_buffer
    .group_segment_fixed_size: 512
    .kernarg_segment_align: 8
    .kernarg_segment_size: 16
    .language:       OpenCL C
    .language_version:
      - 2
      - 0
    .max_flat_workgroup_size: 256
    .name:           _Z6kernelI20flag_heads_and_tailsaLj256ELj3ELb0ELj100EEvPKT0_PS1_
    .private_segment_fixed_size: 0
    .sgpr_count:     20
    .sgpr_spill_count: 0
    .symbol:         _Z6kernelI20flag_heads_and_tailsaLj256ELj3ELb0ELj100EEvPKT0_PS1_.kd
    .uniform_work_group_size: 1
    .uses_dynamic_stack: false
    .vgpr_count:     8
    .vgpr_spill_count: 0
    .wavefront_size: 64
  - .args:
      - .address_space:  global
        .offset:         0
        .size:           8
        .value_kind:     global_buffer
      - .address_space:  global
        .offset:         8
        .size:           8
        .value_kind:     global_buffer
    .group_segment_fixed_size: 512
    .kernarg_segment_align: 8
    .kernarg_segment_size: 16
    .language:       OpenCL C
    .language_version:
      - 2
      - 0
    .max_flat_workgroup_size: 256
    .name:           _Z6kernelI20flag_heads_and_tailsaLj256ELj4ELb0ELj100EEvPKT0_PS1_
    .private_segment_fixed_size: 0
    .sgpr_count:     22
    .sgpr_spill_count: 0
    .symbol:         _Z6kernelI20flag_heads_and_tailsaLj256ELj4ELb0ELj100EEvPKT0_PS1_.kd
    .uniform_work_group_size: 1
    .uses_dynamic_stack: false
    .vgpr_count:     11
    .vgpr_spill_count: 0
    .wavefront_size: 64
  - .args:
      - .address_space:  global
        .offset:         0
        .size:           8
        .value_kind:     global_buffer
      - .address_space:  global
        .offset:         8
        .size:           8
        .value_kind:     global_buffer
    .group_segment_fixed_size: 512
    .kernarg_segment_align: 8
    .kernarg_segment_size: 16
    .language:       OpenCL C
    .language_version:
      - 2
      - 0
    .max_flat_workgroup_size: 256
    .name:           _Z6kernelI20flag_heads_and_tailsaLj256ELj8ELb0ELj100EEvPKT0_PS1_
    .private_segment_fixed_size: 0
    .sgpr_count:     17
    .sgpr_spill_count: 0
    .symbol:         _Z6kernelI20flag_heads_and_tailsaLj256ELj8ELb0ELj100EEvPKT0_PS1_.kd
    .uniform_work_group_size: 1
    .uses_dynamic_stack: false
    .vgpr_count:     16
    .vgpr_spill_count: 0
    .wavefront_size: 64
  - .args:
      - .address_space:  global
        .offset:         0
        .size:           8
        .value_kind:     global_buffer
      - .address_space:  global
        .offset:         8
        .size:           8
        .value_kind:     global_buffer
    .group_segment_fixed_size: 512
    .kernarg_segment_align: 8
    .kernarg_segment_size: 16
    .language:       OpenCL C
    .language_version:
      - 2
      - 0
    .max_flat_workgroup_size: 256
    .name:           _Z6kernelI20flag_heads_and_tailsaLj256ELj1ELb1ELj100EEvPKT0_PS1_
    .private_segment_fixed_size: 0
    .sgpr_count:     12
    .sgpr_spill_count: 0
    .symbol:         _Z6kernelI20flag_heads_and_tailsaLj256ELj1ELb1ELj100EEvPKT0_PS1_.kd
    .uniform_work_group_size: 1
    .uses_dynamic_stack: false
    .vgpr_count:     5
    .vgpr_spill_count: 0
    .wavefront_size: 64
  - .args:
      - .address_space:  global
        .offset:         0
        .size:           8
        .value_kind:     global_buffer
      - .address_space:  global
        .offset:         8
        .size:           8
        .value_kind:     global_buffer
    .group_segment_fixed_size: 512
    .kernarg_segment_align: 8
    .kernarg_segment_size: 16
    .language:       OpenCL C
    .language_version:
      - 2
      - 0
    .max_flat_workgroup_size: 256
    .name:           _Z6kernelI20flag_heads_and_tailsaLj256ELj2ELb1ELj100EEvPKT0_PS1_
    .private_segment_fixed_size: 0
    .sgpr_count:     12
    .sgpr_spill_count: 0
    .symbol:         _Z6kernelI20flag_heads_and_tailsaLj256ELj2ELb1ELj100EEvPKT0_PS1_.kd
    .uniform_work_group_size: 1
    .uses_dynamic_stack: false
    .vgpr_count:     7
    .vgpr_spill_count: 0
    .wavefront_size: 64
  - .args:
      - .address_space:  global
        .offset:         0
        .size:           8
        .value_kind:     global_buffer
      - .address_space:  global
        .offset:         8
        .size:           8
        .value_kind:     global_buffer
    .group_segment_fixed_size: 512
    .kernarg_segment_align: 8
    .kernarg_segment_size: 16
    .language:       OpenCL C
    .language_version:
      - 2
      - 0
    .max_flat_workgroup_size: 256
    .name:           _Z6kernelI20flag_heads_and_tailsaLj256ELj3ELb1ELj100EEvPKT0_PS1_
    .private_segment_fixed_size: 0
    .sgpr_count:     12
    .sgpr_spill_count: 0
    .symbol:         _Z6kernelI20flag_heads_and_tailsaLj256ELj3ELb1ELj100EEvPKT0_PS1_.kd
    .uniform_work_group_size: 1
    .uses_dynamic_stack: false
    .vgpr_count:     10
    .vgpr_spill_count: 0
    .wavefront_size: 64
  - .args:
      - .address_space:  global
        .offset:         0
        .size:           8
        .value_kind:     global_buffer
      - .address_space:  global
        .offset:         8
        .size:           8
        .value_kind:     global_buffer
    .group_segment_fixed_size: 512
    .kernarg_segment_align: 8
    .kernarg_segment_size: 16
    .language:       OpenCL C
    .language_version:
      - 2
      - 0
    .max_flat_workgroup_size: 256
    .name:           _Z6kernelI20flag_heads_and_tailsaLj256ELj4ELb1ELj100EEvPKT0_PS1_
    .private_segment_fixed_size: 0
    .sgpr_count:     16
    .sgpr_spill_count: 0
    .symbol:         _Z6kernelI20flag_heads_and_tailsaLj256ELj4ELb1ELj100EEvPKT0_PS1_.kd
    .uniform_work_group_size: 1
    .uses_dynamic_stack: false
    .vgpr_count:     11
    .vgpr_spill_count: 0
    .wavefront_size: 64
  - .args:
      - .address_space:  global
        .offset:         0
        .size:           8
        .value_kind:     global_buffer
      - .address_space:  global
        .offset:         8
        .size:           8
        .value_kind:     global_buffer
    .group_segment_fixed_size: 512
    .kernarg_segment_align: 8
    .kernarg_segment_size: 16
    .language:       OpenCL C
    .language_version:
      - 2
      - 0
    .max_flat_workgroup_size: 256
    .name:           _Z6kernelI20flag_heads_and_tailsaLj256ELj8ELb1ELj100EEvPKT0_PS1_
    .private_segment_fixed_size: 0
    .sgpr_count:     16
    .sgpr_spill_count: 0
    .symbol:         _Z6kernelI20flag_heads_and_tailsaLj256ELj8ELb1ELj100EEvPKT0_PS1_.kd
    .uniform_work_group_size: 1
    .uses_dynamic_stack: false
    .vgpr_count:     18
    .vgpr_spill_count: 0
    .wavefront_size: 64
  - .args:
      - .address_space:  global
        .offset:         0
        .size:           8
        .value_kind:     global_buffer
      - .address_space:  global
        .offset:         8
        .size:           8
        .value_kind:     global_buffer
    .group_segment_fixed_size: 512
    .kernarg_segment_align: 8
    .kernarg_segment_size: 16
    .language:       OpenCL C
    .language_version:
      - 2
      - 0
    .max_flat_workgroup_size: 256
    .name:           _Z6kernelI20flag_heads_and_tailshLj256ELj1ELb0ELj100EEvPKT0_PS1_
    .private_segment_fixed_size: 0
    .sgpr_count:     14
    .sgpr_spill_count: 0
    .symbol:         _Z6kernelI20flag_heads_and_tailshLj256ELj1ELb0ELj100EEvPKT0_PS1_.kd
    .uniform_work_group_size: 1
    .uses_dynamic_stack: false
    .vgpr_count:     5
    .vgpr_spill_count: 0
    .wavefront_size: 64
  - .args:
      - .address_space:  global
        .offset:         0
        .size:           8
        .value_kind:     global_buffer
      - .address_space:  global
        .offset:         8
        .size:           8
        .value_kind:     global_buffer
    .group_segment_fixed_size: 512
    .kernarg_segment_align: 8
    .kernarg_segment_size: 16
    .language:       OpenCL C
    .language_version:
      - 2
      - 0
    .max_flat_workgroup_size: 256
    .name:           _Z6kernelI20flag_heads_and_tailshLj256ELj2ELb0ELj100EEvPKT0_PS1_
    .private_segment_fixed_size: 0
    .sgpr_count:     16
    .sgpr_spill_count: 0
    .symbol:         _Z6kernelI20flag_heads_and_tailshLj256ELj2ELb0ELj100EEvPKT0_PS1_.kd
    .uniform_work_group_size: 1
    .uses_dynamic_stack: false
    .vgpr_count:     7
    .vgpr_spill_count: 0
    .wavefront_size: 64
  - .args:
      - .address_space:  global
        .offset:         0
        .size:           8
        .value_kind:     global_buffer
      - .address_space:  global
        .offset:         8
        .size:           8
        .value_kind:     global_buffer
    .group_segment_fixed_size: 512
    .kernarg_segment_align: 8
    .kernarg_segment_size: 16
    .language:       OpenCL C
    .language_version:
      - 2
      - 0
    .max_flat_workgroup_size: 256
    .name:           _Z6kernelI20flag_heads_and_tailshLj256ELj3ELb0ELj100EEvPKT0_PS1_
    .private_segment_fixed_size: 0
    .sgpr_count:     20
    .sgpr_spill_count: 0
    .symbol:         _Z6kernelI20flag_heads_and_tailshLj256ELj3ELb0ELj100EEvPKT0_PS1_.kd
    .uniform_work_group_size: 1
    .uses_dynamic_stack: false
    .vgpr_count:     8
    .vgpr_spill_count: 0
    .wavefront_size: 64
  - .args:
      - .address_space:  global
        .offset:         0
        .size:           8
        .value_kind:     global_buffer
      - .address_space:  global
        .offset:         8
        .size:           8
        .value_kind:     global_buffer
    .group_segment_fixed_size: 512
    .kernarg_segment_align: 8
    .kernarg_segment_size: 16
    .language:       OpenCL C
    .language_version:
      - 2
      - 0
    .max_flat_workgroup_size: 256
    .name:           _Z6kernelI20flag_heads_and_tailshLj256ELj4ELb0ELj100EEvPKT0_PS1_
    .private_segment_fixed_size: 0
    .sgpr_count:     22
    .sgpr_spill_count: 0
    .symbol:         _Z6kernelI20flag_heads_and_tailshLj256ELj4ELb0ELj100EEvPKT0_PS1_.kd
    .uniform_work_group_size: 1
    .uses_dynamic_stack: false
    .vgpr_count:     11
    .vgpr_spill_count: 0
    .wavefront_size: 64
  - .args:
      - .address_space:  global
        .offset:         0
        .size:           8
        .value_kind:     global_buffer
      - .address_space:  global
        .offset:         8
        .size:           8
        .value_kind:     global_buffer
    .group_segment_fixed_size: 512
    .kernarg_segment_align: 8
    .kernarg_segment_size: 16
    .language:       OpenCL C
    .language_version:
      - 2
      - 0
    .max_flat_workgroup_size: 256
    .name:           _Z6kernelI20flag_heads_and_tailshLj256ELj8ELb0ELj100EEvPKT0_PS1_
    .private_segment_fixed_size: 0
    .sgpr_count:     17
    .sgpr_spill_count: 0
    .symbol:         _Z6kernelI20flag_heads_and_tailshLj256ELj8ELb0ELj100EEvPKT0_PS1_.kd
    .uniform_work_group_size: 1
    .uses_dynamic_stack: false
    .vgpr_count:     16
    .vgpr_spill_count: 0
    .wavefront_size: 64
  - .args:
      - .address_space:  global
        .offset:         0
        .size:           8
        .value_kind:     global_buffer
      - .address_space:  global
        .offset:         8
        .size:           8
        .value_kind:     global_buffer
    .group_segment_fixed_size: 512
    .kernarg_segment_align: 8
    .kernarg_segment_size: 16
    .language:       OpenCL C
    .language_version:
      - 2
      - 0
    .max_flat_workgroup_size: 256
    .name:           _Z6kernelI20flag_heads_and_tailshLj256ELj1ELb1ELj100EEvPKT0_PS1_
    .private_segment_fixed_size: 0
    .sgpr_count:     12
    .sgpr_spill_count: 0
    .symbol:         _Z6kernelI20flag_heads_and_tailshLj256ELj1ELb1ELj100EEvPKT0_PS1_.kd
    .uniform_work_group_size: 1
    .uses_dynamic_stack: false
    .vgpr_count:     5
    .vgpr_spill_count: 0
    .wavefront_size: 64
  - .args:
      - .address_space:  global
        .offset:         0
        .size:           8
        .value_kind:     global_buffer
      - .address_space:  global
        .offset:         8
        .size:           8
        .value_kind:     global_buffer
    .group_segment_fixed_size: 512
    .kernarg_segment_align: 8
    .kernarg_segment_size: 16
    .language:       OpenCL C
    .language_version:
      - 2
      - 0
    .max_flat_workgroup_size: 256
    .name:           _Z6kernelI20flag_heads_and_tailshLj256ELj2ELb1ELj100EEvPKT0_PS1_
    .private_segment_fixed_size: 0
    .sgpr_count:     12
    .sgpr_spill_count: 0
    .symbol:         _Z6kernelI20flag_heads_and_tailshLj256ELj2ELb1ELj100EEvPKT0_PS1_.kd
    .uniform_work_group_size: 1
    .uses_dynamic_stack: false
    .vgpr_count:     7
    .vgpr_spill_count: 0
    .wavefront_size: 64
  - .args:
      - .address_space:  global
        .offset:         0
        .size:           8
        .value_kind:     global_buffer
      - .address_space:  global
        .offset:         8
        .size:           8
        .value_kind:     global_buffer
    .group_segment_fixed_size: 512
    .kernarg_segment_align: 8
    .kernarg_segment_size: 16
    .language:       OpenCL C
    .language_version:
      - 2
      - 0
    .max_flat_workgroup_size: 256
    .name:           _Z6kernelI20flag_heads_and_tailshLj256ELj3ELb1ELj100EEvPKT0_PS1_
    .private_segment_fixed_size: 0
    .sgpr_count:     12
    .sgpr_spill_count: 0
    .symbol:         _Z6kernelI20flag_heads_and_tailshLj256ELj3ELb1ELj100EEvPKT0_PS1_.kd
    .uniform_work_group_size: 1
    .uses_dynamic_stack: false
    .vgpr_count:     10
    .vgpr_spill_count: 0
    .wavefront_size: 64
  - .args:
      - .address_space:  global
        .offset:         0
        .size:           8
        .value_kind:     global_buffer
      - .address_space:  global
        .offset:         8
        .size:           8
        .value_kind:     global_buffer
    .group_segment_fixed_size: 512
    .kernarg_segment_align: 8
    .kernarg_segment_size: 16
    .language:       OpenCL C
    .language_version:
      - 2
      - 0
    .max_flat_workgroup_size: 256
    .name:           _Z6kernelI20flag_heads_and_tailshLj256ELj4ELb1ELj100EEvPKT0_PS1_
    .private_segment_fixed_size: 0
    .sgpr_count:     16
    .sgpr_spill_count: 0
    .symbol:         _Z6kernelI20flag_heads_and_tailshLj256ELj4ELb1ELj100EEvPKT0_PS1_.kd
    .uniform_work_group_size: 1
    .uses_dynamic_stack: false
    .vgpr_count:     11
    .vgpr_spill_count: 0
    .wavefront_size: 64
  - .args:
      - .address_space:  global
        .offset:         0
        .size:           8
        .value_kind:     global_buffer
      - .address_space:  global
        .offset:         8
        .size:           8
        .value_kind:     global_buffer
    .group_segment_fixed_size: 512
    .kernarg_segment_align: 8
    .kernarg_segment_size: 16
    .language:       OpenCL C
    .language_version:
      - 2
      - 0
    .max_flat_workgroup_size: 256
    .name:           _Z6kernelI20flag_heads_and_tailshLj256ELj8ELb1ELj100EEvPKT0_PS1_
    .private_segment_fixed_size: 0
    .sgpr_count:     16
    .sgpr_spill_count: 0
    .symbol:         _Z6kernelI20flag_heads_and_tailshLj256ELj8ELb1ELj100EEvPKT0_PS1_.kd
    .uniform_work_group_size: 1
    .uses_dynamic_stack: false
    .vgpr_count:     18
    .vgpr_spill_count: 0
    .wavefront_size: 64
  - .args:
      - .address_space:  global
        .offset:         0
        .size:           8
        .value_kind:     global_buffer
      - .address_space:  global
        .offset:         8
        .size:           8
        .value_kind:     global_buffer
    .group_segment_fixed_size: 4096
    .kernarg_segment_align: 8
    .kernarg_segment_size: 16
    .language:       OpenCL C
    .language_version:
      - 2
      - 0
    .max_flat_workgroup_size: 256
    .name:           _Z6kernelI20flag_heads_and_tailsxLj256ELj1ELb0ELj100EEvPKT0_PS1_
    .private_segment_fixed_size: 0
    .sgpr_count:     16
    .sgpr_spill_count: 0
    .symbol:         _Z6kernelI20flag_heads_and_tailsxLj256ELj1ELb0ELj100EEvPKT0_PS1_.kd
    .uniform_work_group_size: 1
    .uses_dynamic_stack: false
    .vgpr_count:     9
    .vgpr_spill_count: 0
    .wavefront_size: 64
  - .args:
      - .address_space:  global
        .offset:         0
        .size:           8
        .value_kind:     global_buffer
      - .address_space:  global
        .offset:         8
        .size:           8
        .value_kind:     global_buffer
    .group_segment_fixed_size: 4096
    .kernarg_segment_align: 8
    .kernarg_segment_size: 16
    .language:       OpenCL C
    .language_version:
      - 2
      - 0
    .max_flat_workgroup_size: 256
    .name:           _Z6kernelI20flag_heads_and_tailsxLj256ELj2ELb0ELj100EEvPKT0_PS1_
    .private_segment_fixed_size: 0
    .sgpr_count:     17
    .sgpr_spill_count: 0
    .symbol:         _Z6kernelI20flag_heads_and_tailsxLj256ELj2ELb0ELj100EEvPKT0_PS1_.kd
    .uniform_work_group_size: 1
    .uses_dynamic_stack: false
    .vgpr_count:     12
    .vgpr_spill_count: 0
    .wavefront_size: 64
  - .args:
      - .address_space:  global
        .offset:         0
        .size:           8
        .value_kind:     global_buffer
      - .address_space:  global
        .offset:         8
        .size:           8
        .value_kind:     global_buffer
    .group_segment_fixed_size: 4096
    .kernarg_segment_align: 8
    .kernarg_segment_size: 16
    .language:       OpenCL C
    .language_version:
      - 2
      - 0
    .max_flat_workgroup_size: 256
    .name:           _Z6kernelI20flag_heads_and_tailsxLj256ELj3ELb0ELj100EEvPKT0_PS1_
    .private_segment_fixed_size: 0
    .sgpr_count:     19
    .sgpr_spill_count: 0
    .symbol:         _Z6kernelI20flag_heads_and_tailsxLj256ELj3ELb0ELj100EEvPKT0_PS1_.kd
    .uniform_work_group_size: 1
    .uses_dynamic_stack: false
    .vgpr_count:     15
    .vgpr_spill_count: 0
    .wavefront_size: 64
  - .args:
      - .address_space:  global
        .offset:         0
        .size:           8
        .value_kind:     global_buffer
      - .address_space:  global
        .offset:         8
        .size:           8
        .value_kind:     global_buffer
    .group_segment_fixed_size: 4096
    .kernarg_segment_align: 8
    .kernarg_segment_size: 16
    .language:       OpenCL C
    .language_version:
      - 2
      - 0
    .max_flat_workgroup_size: 256
    .name:           _Z6kernelI20flag_heads_and_tailsxLj256ELj4ELb0ELj100EEvPKT0_PS1_
    .private_segment_fixed_size: 0
    .sgpr_count:     16
    .sgpr_spill_count: 0
    .symbol:         _Z6kernelI20flag_heads_and_tailsxLj256ELj4ELb0ELj100EEvPKT0_PS1_.kd
    .uniform_work_group_size: 1
    .uses_dynamic_stack: false
    .vgpr_count:     16
    .vgpr_spill_count: 0
    .wavefront_size: 64
  - .args:
      - .address_space:  global
        .offset:         0
        .size:           8
        .value_kind:     global_buffer
      - .address_space:  global
        .offset:         8
        .size:           8
        .value_kind:     global_buffer
    .group_segment_fixed_size: 4096
    .kernarg_segment_align: 8
    .kernarg_segment_size: 16
    .language:       OpenCL C
    .language_version:
      - 2
      - 0
    .max_flat_workgroup_size: 256
    .name:           _Z6kernelI20flag_heads_and_tailsxLj256ELj8ELb0ELj100EEvPKT0_PS1_
    .private_segment_fixed_size: 0
    .sgpr_count:     16
    .sgpr_spill_count: 0
    .symbol:         _Z6kernelI20flag_heads_and_tailsxLj256ELj8ELb0ELj100EEvPKT0_PS1_.kd
    .uniform_work_group_size: 1
    .uses_dynamic_stack: false
    .vgpr_count:     26
    .vgpr_spill_count: 0
    .wavefront_size: 64
  - .args:
      - .address_space:  global
        .offset:         0
        .size:           8
        .value_kind:     global_buffer
      - .address_space:  global
        .offset:         8
        .size:           8
        .value_kind:     global_buffer
    .group_segment_fixed_size: 4096
    .kernarg_segment_align: 8
    .kernarg_segment_size: 16
    .language:       OpenCL C
    .language_version:
      - 2
      - 0
    .max_flat_workgroup_size: 256
    .name:           _Z6kernelI20flag_heads_and_tailsxLj256ELj1ELb1ELj100EEvPKT0_PS1_
    .private_segment_fixed_size: 0
    .sgpr_count:     16
    .sgpr_spill_count: 0
    .symbol:         _Z6kernelI20flag_heads_and_tailsxLj256ELj1ELb1ELj100EEvPKT0_PS1_.kd
    .uniform_work_group_size: 1
    .uses_dynamic_stack: false
    .vgpr_count:     9
    .vgpr_spill_count: 0
    .wavefront_size: 64
  - .args:
      - .address_space:  global
        .offset:         0
        .size:           8
        .value_kind:     global_buffer
      - .address_space:  global
        .offset:         8
        .size:           8
        .value_kind:     global_buffer
    .group_segment_fixed_size: 4096
    .kernarg_segment_align: 8
    .kernarg_segment_size: 16
    .language:       OpenCL C
    .language_version:
      - 2
      - 0
    .max_flat_workgroup_size: 256
    .name:           _Z6kernelI20flag_heads_and_tailsxLj256ELj2ELb1ELj100EEvPKT0_PS1_
    .private_segment_fixed_size: 0
    .sgpr_count:     16
    .sgpr_spill_count: 0
    .symbol:         _Z6kernelI20flag_heads_and_tailsxLj256ELj2ELb1ELj100EEvPKT0_PS1_.kd
    .uniform_work_group_size: 1
    .uses_dynamic_stack: false
    .vgpr_count:     11
    .vgpr_spill_count: 0
    .wavefront_size: 64
  - .args:
      - .address_space:  global
        .offset:         0
        .size:           8
        .value_kind:     global_buffer
      - .address_space:  global
        .offset:         8
        .size:           8
        .value_kind:     global_buffer
    .group_segment_fixed_size: 4096
    .kernarg_segment_align: 8
    .kernarg_segment_size: 16
    .language:       OpenCL C
    .language_version:
      - 2
      - 0
    .max_flat_workgroup_size: 256
    .name:           _Z6kernelI20flag_heads_and_tailsxLj256ELj3ELb1ELj100EEvPKT0_PS1_
    .private_segment_fixed_size: 0
    .sgpr_count:     16
    .sgpr_spill_count: 0
    .symbol:         _Z6kernelI20flag_heads_and_tailsxLj256ELj3ELb1ELj100EEvPKT0_PS1_.kd
    .uniform_work_group_size: 1
    .uses_dynamic_stack: false
    .vgpr_count:     14
    .vgpr_spill_count: 0
    .wavefront_size: 64
  - .args:
      - .address_space:  global
        .offset:         0
        .size:           8
        .value_kind:     global_buffer
      - .address_space:  global
        .offset:         8
        .size:           8
        .value_kind:     global_buffer
    .group_segment_fixed_size: 4096
    .kernarg_segment_align: 8
    .kernarg_segment_size: 16
    .language:       OpenCL C
    .language_version:
      - 2
      - 0
    .max_flat_workgroup_size: 256
    .name:           _Z6kernelI20flag_heads_and_tailsxLj256ELj4ELb1ELj100EEvPKT0_PS1_
    .private_segment_fixed_size: 0
    .sgpr_count:     16
    .sgpr_spill_count: 0
    .symbol:         _Z6kernelI20flag_heads_and_tailsxLj256ELj4ELb1ELj100EEvPKT0_PS1_.kd
    .uniform_work_group_size: 1
    .uses_dynamic_stack: false
    .vgpr_count:     16
    .vgpr_spill_count: 0
    .wavefront_size: 64
  - .args:
      - .address_space:  global
        .offset:         0
        .size:           8
        .value_kind:     global_buffer
      - .address_space:  global
        .offset:         8
        .size:           8
        .value_kind:     global_buffer
    .group_segment_fixed_size: 4096
    .kernarg_segment_align: 8
    .kernarg_segment_size: 16
    .language:       OpenCL C
    .language_version:
      - 2
      - 0
    .max_flat_workgroup_size: 256
    .name:           _Z6kernelI20flag_heads_and_tailsxLj256ELj8ELb1ELj100EEvPKT0_PS1_
    .private_segment_fixed_size: 0
    .sgpr_count:     16
    .sgpr_spill_count: 0
    .symbol:         _Z6kernelI20flag_heads_and_tailsxLj256ELj8ELb1ELj100EEvPKT0_PS1_.kd
    .uniform_work_group_size: 1
    .uses_dynamic_stack: false
    .vgpr_count:     24
    .vgpr_spill_count: 0
    .wavefront_size: 64
amdhsa.target:   amdgcn-amd-amdhsa--gfx906
amdhsa.version:
  - 1
  - 2
...

	.end_amdgpu_metadata
